;; amdgpu-corpus repo=pytorch/pytorch kind=compiled arch=gfx1100 opt=O3
	.text
	.amdgcn_target "amdgcn-amd-amdhsa--gfx1100"
	.amdhsa_code_object_version 6
	.section	.text._ZN2at6native12_GLOBAL__N_143distribution_elementwise_grid_stride_kernelIdLi2EZNS0_9templates4cuda21uniform_and_transformIddPNS_17CUDAGeneratorImplEZZZNS4_14uniform_kernelIS7_EEvRNS_18TensorIteratorBaseEddT_ENKUlvE_clEvENKUlvE_clEvEUldE_EEvSA_T1_T2_EUlP25hiprandStatePhilox4_32_10E_ZNS1_27distribution_nullary_kernelIdd15HIP_vector_typeIdLj2EES7_SJ_SE_EEvSA_SG_RKT3_T4_EUlidE_EEvlNS_15PhiloxCudaStateESF_SG_,"axG",@progbits,_ZN2at6native12_GLOBAL__N_143distribution_elementwise_grid_stride_kernelIdLi2EZNS0_9templates4cuda21uniform_and_transformIddPNS_17CUDAGeneratorImplEZZZNS4_14uniform_kernelIS7_EEvRNS_18TensorIteratorBaseEddT_ENKUlvE_clEvENKUlvE_clEvEUldE_EEvSA_T1_T2_EUlP25hiprandStatePhilox4_32_10E_ZNS1_27distribution_nullary_kernelIdd15HIP_vector_typeIdLj2EES7_SJ_SE_EEvSA_SG_RKT3_T4_EUlidE_EEvlNS_15PhiloxCudaStateESF_SG_,comdat
	.globl	_ZN2at6native12_GLOBAL__N_143distribution_elementwise_grid_stride_kernelIdLi2EZNS0_9templates4cuda21uniform_and_transformIddPNS_17CUDAGeneratorImplEZZZNS4_14uniform_kernelIS7_EEvRNS_18TensorIteratorBaseEddT_ENKUlvE_clEvENKUlvE_clEvEUldE_EEvSA_T1_T2_EUlP25hiprandStatePhilox4_32_10E_ZNS1_27distribution_nullary_kernelIdd15HIP_vector_typeIdLj2EES7_SJ_SE_EEvSA_SG_RKT3_T4_EUlidE_EEvlNS_15PhiloxCudaStateESF_SG_ ; -- Begin function _ZN2at6native12_GLOBAL__N_143distribution_elementwise_grid_stride_kernelIdLi2EZNS0_9templates4cuda21uniform_and_transformIddPNS_17CUDAGeneratorImplEZZZNS4_14uniform_kernelIS7_EEvRNS_18TensorIteratorBaseEddT_ENKUlvE_clEvENKUlvE_clEvEUldE_EEvSA_T1_T2_EUlP25hiprandStatePhilox4_32_10E_ZNS1_27distribution_nullary_kernelIdd15HIP_vector_typeIdLj2EES7_SJ_SE_EEvSA_SG_RKT3_T4_EUlidE_EEvlNS_15PhiloxCudaStateESF_SG_
	.p2align	8
	.type	_ZN2at6native12_GLOBAL__N_143distribution_elementwise_grid_stride_kernelIdLi2EZNS0_9templates4cuda21uniform_and_transformIddPNS_17CUDAGeneratorImplEZZZNS4_14uniform_kernelIS7_EEvRNS_18TensorIteratorBaseEddT_ENKUlvE_clEvENKUlvE_clEvEUldE_EEvSA_T1_T2_EUlP25hiprandStatePhilox4_32_10E_ZNS1_27distribution_nullary_kernelIdd15HIP_vector_typeIdLj2EES7_SJ_SE_EEvSA_SG_RKT3_T4_EUlidE_EEvlNS_15PhiloxCudaStateESF_SG_,@function
_ZN2at6native12_GLOBAL__N_143distribution_elementwise_grid_stride_kernelIdLi2EZNS0_9templates4cuda21uniform_and_transformIddPNS_17CUDAGeneratorImplEZZZNS4_14uniform_kernelIS7_EEvRNS_18TensorIteratorBaseEddT_ENKUlvE_clEvENKUlvE_clEvEUldE_EEvSA_T1_T2_EUlP25hiprandStatePhilox4_32_10E_ZNS1_27distribution_nullary_kernelIdd15HIP_vector_typeIdLj2EES7_SJ_SE_EEvSA_SG_RKT3_T4_EUlidE_EEvlNS_15PhiloxCudaStateESF_SG_: ; @_ZN2at6native12_GLOBAL__N_143distribution_elementwise_grid_stride_kernelIdLi2EZNS0_9templates4cuda21uniform_and_transformIddPNS_17CUDAGeneratorImplEZZZNS4_14uniform_kernelIS7_EEvRNS_18TensorIteratorBaseEddT_ENKUlvE_clEvENKUlvE_clEvEUldE_EEvSA_T1_T2_EUlP25hiprandStatePhilox4_32_10E_ZNS1_27distribution_nullary_kernelIdd15HIP_vector_typeIdLj2EES7_SJ_SE_EEvSA_SG_RKT3_T4_EUlidE_EEvlNS_15PhiloxCudaStateESF_SG_
; %bb.0:
	s_clause 0x2
	s_load_b64 s[8:9], s[0:1], 0x10
	s_load_b128 s[4:7], s[0:1], 0x0
	s_load_b32 s2, s[0:1], 0x20
	s_waitcnt lgkmcnt(0)
	v_dual_mov_b32 v2, s8 :: v_dual_mov_b32 v3, s9
	v_dual_mov_b32 v12, s7 :: v_dual_mov_b32 v11, s6
	s_bitcmp0_b32 s2, 0
	s_mov_b32 s2, 0
	s_cbranch_scc1 .LBB0_2
; %bb.1:
	v_dual_mov_b32 v1, s8 :: v_dual_mov_b32 v2, s9
	v_dual_mov_b32 v4, s6 :: v_dual_mov_b32 v5, s7
	s_load_b64 s[6:7], s[0:1], 0x18
	flat_load_b64 v[2:3], v[1:2]
	flat_load_b64 v[11:12], v[4:5]
	s_waitcnt vmcnt(1) lgkmcnt(0)
	v_add_co_u32 v2, vcc_lo, v2, s6
	v_add_co_ci_u32_e32 v3, vcc_lo, s7, v3, vcc_lo
.LBB0_2:
	s_clause 0x1
	s_load_b32 s3, s[0:1], 0x64
	s_load_b32 s18, s[0:1], 0x58
	s_waitcnt lgkmcnt(0)
	s_and_b32 s17, s3, 0xffff
	s_add_u32 s6, s4, -1
	s_mul_i32 s14, s18, s17
	s_addc_u32 s3, s5, -1
	s_lshl_b32 s16, s14, 1
	s_cmp_lg_u64 s[2:3], 0
	s_cbranch_scc0 .LBB0_23
; %bb.3:
	v_cvt_f32_ubyte0_e32 v1, 0
	v_cvt_f32_u32_e32 v4, s16
	s_sub_u32 s8, 0, s16
	s_subb_u32 s9, 0, 0
	s_delay_alu instid0(VALU_DEP_1) | instskip(NEXT) | instid1(VALU_DEP_1)
	v_fmamk_f32 v1, v1, 0x4f800000, v4
	v_rcp_f32_e32 v1, v1
	s_waitcnt_depctr 0xfff
	v_mul_f32_e32 v1, 0x5f7ffffc, v1
	s_delay_alu instid0(VALU_DEP_1) | instskip(NEXT) | instid1(VALU_DEP_1)
	v_mul_f32_e32 v4, 0x2f800000, v1
	v_trunc_f32_e32 v4, v4
	s_delay_alu instid0(VALU_DEP_1) | instskip(SKIP_1) | instid1(VALU_DEP_2)
	v_fmamk_f32 v1, v4, 0xcf800000, v1
	v_cvt_u32_f32_e32 v4, v4
	v_cvt_u32_f32_e32 v1, v1
	s_delay_alu instid0(VALU_DEP_2) | instskip(NEXT) | instid1(VALU_DEP_2)
	v_readfirstlane_b32 s2, v4
	v_readfirstlane_b32 s7, v1
	s_delay_alu instid0(VALU_DEP_2) | instskip(NEXT) | instid1(VALU_DEP_1)
	s_mul_i32 s10, s8, s2
	s_mul_hi_u32 s12, s8, s7
	s_mul_i32 s11, s9, s7
	s_add_i32 s10, s12, s10
	s_mul_i32 s13, s8, s7
	s_add_i32 s10, s10, s11
	s_mul_hi_u32 s12, s7, s13
	s_mul_hi_u32 s19, s2, s13
	s_mul_i32 s11, s2, s13
	s_mul_hi_u32 s13, s7, s10
	s_mul_i32 s7, s7, s10
	s_mul_hi_u32 s20, s2, s10
	s_add_u32 s7, s12, s7
	s_addc_u32 s12, 0, s13
	s_add_u32 s7, s7, s11
	s_mul_i32 s10, s2, s10
	s_addc_u32 s7, s12, s19
	s_addc_u32 s11, s20, 0
	s_add_u32 s7, s7, s10
	s_addc_u32 s10, 0, s11
	v_add_co_u32 v1, s7, v1, s7
	s_delay_alu instid0(VALU_DEP_1) | instskip(SKIP_1) | instid1(VALU_DEP_1)
	s_cmp_lg_u32 s7, 0
	s_addc_u32 s2, s2, s10
	v_readfirstlane_b32 s7, v1
	s_mul_i32 s10, s8, s2
	s_delay_alu instid0(VALU_DEP_1)
	s_mul_hi_u32 s11, s8, s7
	s_mul_i32 s9, s9, s7
	s_add_i32 s10, s11, s10
	s_mul_i32 s8, s8, s7
	s_add_i32 s10, s10, s9
	s_mul_hi_u32 s11, s2, s8
	s_mul_i32 s12, s2, s8
	s_mul_hi_u32 s8, s7, s8
	s_mul_hi_u32 s13, s7, s10
	s_mul_i32 s7, s7, s10
	s_mul_hi_u32 s9, s2, s10
	s_add_u32 s7, s8, s7
	s_addc_u32 s8, 0, s13
	s_add_u32 s7, s7, s12
	s_mul_i32 s10, s2, s10
	s_addc_u32 s7, s8, s11
	s_addc_u32 s8, s9, 0
	s_add_u32 s7, s7, s10
	s_addc_u32 s8, 0, s8
	v_add_co_u32 v1, s7, v1, s7
	s_delay_alu instid0(VALU_DEP_1) | instskip(SKIP_2) | instid1(VALU_DEP_1)
	s_cmp_lg_u32 s7, 0
	s_addc_u32 s7, s2, s8
	s_ashr_i32 s8, s3, 31
	v_readfirstlane_b32 s10, v1
	s_add_u32 s2, s6, s8
	s_mov_b32 s9, s8
	s_addc_u32 s3, s3, s8
	s_delay_alu instid0(SALU_CYCLE_1) | instskip(NEXT) | instid1(SALU_CYCLE_1)
	s_xor_b64 s[2:3], s[2:3], s[8:9]
	s_mul_i32 s12, s2, s7
	s_mul_hi_u32 s13, s2, s10
	s_mul_hi_u32 s11, s2, s7
	;; [unrolled: 1-line block ×3, first 2 shown]
	s_mul_i32 s10, s3, s10
	s_add_u32 s12, s13, s12
	s_addc_u32 s11, 0, s11
	s_mul_hi_u32 s19, s3, s7
	s_add_u32 s10, s12, s10
	s_mul_i32 s7, s3, s7
	s_addc_u32 s10, s11, s20
	s_addc_u32 s11, s19, 0
	s_add_u32 s7, s10, s7
	s_addc_u32 s10, 0, s11
	s_mul_i32 s12, s16, s7
	s_add_u32 s11, s7, 1
	v_sub_co_u32 v1, s2, s2, s12
	s_mul_hi_u32 s12, s16, s7
	s_addc_u32 s13, s10, 0
	s_mul_i32 s19, s16, s10
	s_delay_alu instid0(VALU_DEP_1)
	v_sub_co_u32 v4, s20, v1, s16
	s_add_u32 s21, s7, 2
	s_addc_u32 s22, s10, 0
	s_add_i32 s12, s12, s19
	s_cmp_lg_u32 s2, 0
	v_readfirstlane_b32 s2, v4
	s_subb_u32 s3, s3, s12
	s_cmp_lg_u32 s20, 0
	s_subb_u32 s12, s3, 0
	s_delay_alu instid0(VALU_DEP_1) | instskip(SKIP_4) | instid1(SALU_CYCLE_1)
	s_cmp_ge_u32 s2, s16
	s_cselect_b32 s2, -1, 0
	s_cmp_eq_u32 s12, 0
	v_readfirstlane_b32 s12, v1
	s_cselect_b32 s2, s2, -1
	s_cmp_lg_u32 s2, 0
	s_cselect_b32 s2, s21, s11
	s_cselect_b32 s11, s22, s13
	s_cmp_ge_u32 s12, s16
	s_cselect_b32 s12, -1, 0
	s_cmp_eq_u32 s3, 0
	s_cselect_b32 s3, s12, -1
	s_delay_alu instid0(SALU_CYCLE_1) | instskip(SKIP_2) | instid1(SALU_CYCLE_1)
	s_cmp_lg_u32 s3, 0
	s_cselect_b32 s3, s11, s10
	s_cselect_b32 s2, s2, s7
	s_xor_b64 s[2:3], s[2:3], s[8:9]
	s_delay_alu instid0(SALU_CYCLE_1)
	s_sub_u32 s2, s2, s8
	s_subb_u32 s3, s3, s8
	s_cbranch_execnz .LBB0_5
.LBB0_4:
	v_cvt_f32_u32_e32 v1, s16
	s_sub_i32 s3, 0, s16
	s_delay_alu instid0(VALU_DEP_1) | instskip(SKIP_2) | instid1(VALU_DEP_1)
	v_rcp_iflag_f32_e32 v1, v1
	s_waitcnt_depctr 0xfff
	v_mul_f32_e32 v1, 0x4f7ffffe, v1
	v_cvt_u32_f32_e32 v1, v1
	s_delay_alu instid0(VALU_DEP_1) | instskip(NEXT) | instid1(VALU_DEP_1)
	v_readfirstlane_b32 s2, v1
	s_mul_i32 s3, s3, s2
	s_delay_alu instid0(SALU_CYCLE_1) | instskip(NEXT) | instid1(SALU_CYCLE_1)
	s_mul_hi_u32 s3, s2, s3
	s_add_i32 s2, s2, s3
	s_delay_alu instid0(SALU_CYCLE_1) | instskip(NEXT) | instid1(SALU_CYCLE_1)
	s_mul_hi_u32 s2, s6, s2
	s_mul_i32 s3, s2, s16
	s_delay_alu instid0(SALU_CYCLE_1)
	s_sub_i32 s3, s6, s3
	s_add_i32 s6, s2, 1
	s_sub_i32 s7, s3, s16
	s_cmp_ge_u32 s3, s16
	s_cselect_b32 s2, s6, s2
	s_cselect_b32 s3, s7, s3
	s_add_i32 s6, s2, 1
	s_cmp_ge_u32 s3, s16
	s_mov_b32 s3, 0
	s_cselect_b32 s2, s6, s2
.LBB0_5:
	v_mov_b32_e32 v1, 0
	s_add_u32 s2, s2, 1
	s_addc_u32 s3, s3, 0
	s_mul_hi_u32 s6, s14, s2
	s_mul_i32 s3, s14, s3
	v_mad_u64_u32 v[13:14], null, s17, s15, v[0:1]
	s_mul_hi_u32 s7, s18, s17
	s_add_i32 s3, s6, s3
	s_mul_i32 s7, s7, s2
	s_mul_i32 s2, s14, s2
	s_add_i32 s3, s3, s7
	s_mov_b32 s6, exec_lo
	s_lshl_b64 s[2:3], s[2:3], 1
	s_delay_alu instid0(SALU_CYCLE_1)
	v_cmpx_gt_i64_e64 s[2:3], v[13:14]
	s_cbranch_execz .LBB0_22
; %bb.6:
	v_alignbit_b32 v17, v3, v2, 2
	v_mad_u64_u32 v[6:7], null, 0xcd9e8d57, v13, 0
	v_lshrrev_b32_e32 v18, 2, v3
	s_waitcnt vmcnt(0)
	v_dual_mov_b32 v15, v12 :: v_dual_add_nc_u32 v34, 0x8ff34781, v11
	v_mad_u64_u32 v[4:5], null, 0xd2511f53, v17, 0
	v_add_co_u32 v20, null, 0x9e3779b9, v11
	v_xor3_b32 v3, v11, v7, v18
	s_delay_alu instid0(VALU_DEP_4) | instskip(SKIP_2) | instid1(VALU_DEP_4)
	v_add_co_u32 v19, null, 0xbb67ae85, v15
	v_add_co_u32 v21, null, 0x3c6ef372, v11
	v_xor_b32_e32 v1, v5, v12
	v_mad_u64_u32 v[7:8], null, 0xd2511f53, v3, 0
	v_add_co_u32 v22, null, 0x76cf5d0a, v15
	s_delay_alu instid0(VALU_DEP_3) | instskip(SKIP_2) | instid1(VALU_DEP_3)
	v_xor_b32_e32 v1, v1, v14
	v_add_co_u32 v23, null, 0x32370b8f, v15
	v_add_co_u32 v24, null, 0xdaa66d2b, v11
	v_mad_u64_u32 v[9:10], null, 0xcd9e8d57, v1, 0
	v_xor3_b32 v1, v19, v8, v4
	v_add_co_u32 v25, null, 0x78dde6e4, v11
	v_add_co_u32 v26, null, 0xed9eba14, v15
	s_delay_alu instid0(VALU_DEP_3) | instskip(SKIP_3) | instid1(VALU_DEP_3)
	v_mad_u64_u32 v[3:4], null, 0xcd9e8d57, v1, 0
	v_xor3_b32 v8, v20, v10, v6
	v_add_co_u32 v27, null, 0xa9066899, v15
	v_add_co_u32 v28, null, 0x1715609d, v11
	v_mad_u64_u32 v[5:6], null, 0xd2511f53, v8, 0
	v_xor3_b32 v1, v21, v4, v9
	v_add_co_u32 v29, null, 0xb54cda56, v11
	v_add_co_u32 v30, null, 0x646e171e, v15
	;; [unrolled: 1-line block ×3, first 2 shown]
	v_xor3_b32 v4, v22, v6, v7
	v_mad_u64_u32 v[6:7], null, 0xd2511f53, v1, 0
	v_add_co_u32 v32, null, 0x5384540f, v11
	s_delay_alu instid0(VALU_DEP_3) | instskip(SKIP_1) | instid1(VALU_DEP_4)
	v_mad_u64_u32 v[8:9], null, 0xcd9e8d57, v4, 0
	v_dual_mov_b32 v38, v13 :: v_dual_and_b32 v33, 3, v2
	v_xor3_b32 v1, v23, v7, v5
	s_clause 0x3
	s_load_b64 s[6:7], s[0:1], 0x50
	s_load_b128 s[8:11], s[0:1], 0x40
	s_load_b64 s[12:13], s[0:1], 0x30
	s_load_b32 s0, s[0:1], 0x38
	v_add_co_u32 v35, null, 0xf1bbcdc8, v11
	v_xor3_b32 v5, v24, v9, v3
	v_mad_u64_u32 v[3:4], null, 0xcd9e8d57, v1, 0
	v_add_co_u32 v36, null, 0xdb3d7428, v15
	s_delay_alu instid0(VALU_DEP_3) | instskip(SKIP_3) | instid1(VALU_DEP_4)
	v_mad_u64_u32 v[9:10], null, 0xd2511f53, v5, 0
	v_add_nc_u32_e32 v37, 0x96a522ad, v12
	v_mov_b32_e32 v41, v14
	v_xor3_b32 v1, v25, v4, v8
	v_xor3_b32 v8, v26, v10, v6
	s_delay_alu instid0(VALU_DEP_2) | instskip(SKIP_2) | instid1(VALU_DEP_2)
	v_mad_u64_u32 v[4:5], null, 0xd2511f53, v1, 0
	s_waitcnt lgkmcnt(0)
	s_mul_i32 s1, s18, s0
	v_mad_u64_u32 v[6:7], null, 0xcd9e8d57, v8, 0
	s_delay_alu instid0(VALU_DEP_2) | instskip(NEXT) | instid1(VALU_DEP_2)
	v_xor3_b32 v1, v27, v5, v9
	v_xor3_b32 v3, v28, v7, v3
	s_delay_alu instid0(VALU_DEP_2) | instskip(NEXT) | instid1(VALU_DEP_2)
	v_mad_u64_u32 v[7:8], null, 0xcd9e8d57, v1, 0
	v_mad_u64_u32 v[9:10], null, 0xd2511f53, v3, 0
	s_delay_alu instid0(VALU_DEP_2) | instskip(NEXT) | instid1(VALU_DEP_2)
	v_xor3_b32 v1, v29, v8, v6
	v_xor3_b32 v8, v30, v10, v4
	s_delay_alu instid0(VALU_DEP_2) | instskip(NEXT) | instid1(VALU_DEP_2)
	v_mad_u64_u32 v[3:4], null, 0xd2511f53, v1, 0
	v_mad_u64_u32 v[5:6], null, 0xcd9e8d57, v8, 0
	s_delay_alu instid0(VALU_DEP_2) | instskip(NEXT) | instid1(VALU_DEP_2)
	v_xor3_b32 v1, v31, v4, v9
	v_xor3_b32 v2, v32, v6, v7
	s_delay_alu instid0(VALU_DEP_2) | instskip(SKIP_1) | instid1(VALU_DEP_3)
	v_mad_u64_u32 v[6:7], null, 0xcd9e8d57, v1, 0
	v_mad_u64_u32 v[15:16], null, s15, s17, v[0:1]
	;; [unrolled: 1-line block ×3, first 2 shown]
	s_add_i32 s15, s15, s18
	s_delay_alu instid0(VALU_DEP_3) | instskip(NEXT) | instid1(VALU_DEP_3)
	v_xor3_b32 v1, v35, v7, v5
	v_mul_lo_u32 v39, s0, v15
	s_delay_alu instid0(VALU_DEP_3) | instskip(NEXT) | instid1(VALU_DEP_3)
	v_xor3_b32 v7, v36, v9, v3
	v_mad_u64_u32 v[3:4], null, s15, s17, v[0:1]
	v_mad_u64_u32 v[4:5], null, 0xd2511f53, v1, 0
	s_delay_alu instid0(VALU_DEP_3) | instskip(NEXT) | instid1(VALU_DEP_3)
	v_mad_u64_u32 v[1:2], null, 0xcd9e8d57, v7, 0
	v_mul_lo_u32 v40, s0, v3
	s_mul_i32 s0, s1, s17
	s_delay_alu instid0(VALU_DEP_3) | instskip(SKIP_1) | instid1(VALU_DEP_3)
	v_mov_b32_e32 v3, v4
	s_mov_b32 s1, 0
	v_xor3_b32 v0, v2, v6, v34
	v_xor3_b32 v2, v5, v8, v37
	s_lshl_b32 s15, s0, 1
	s_mov_b32 s17, 0
	s_branch .LBB0_8
.LBB0_7:                                ;   in Loop: Header=BB0_8 Depth=1
	s_or_b32 exec_lo, exec_lo, s18
	v_add_co_u32 v13, vcc_lo, v13, s16
	v_add_co_ci_u32_e32 v14, vcc_lo, 0, v14, vcc_lo
	v_mov_b32_e32 v7, v15
	v_dual_mov_b32 v0, v4 :: v_dual_mov_b32 v1, v5
	s_delay_alu instid0(VALU_DEP_3) | instskip(NEXT) | instid1(VALU_DEP_3)
	v_cmp_le_i64_e32 vcc_lo, s[2:3], v[13:14]
	v_dual_mov_b32 v2, v6 :: v_dual_mov_b32 v3, v7
	s_add_i32 s17, s17, s15
	s_waitcnt_vscnt null, 0x0
	s_barrier
	s_or_b32 s1, vcc_lo, s1
	buffer_gl0_inv
	s_and_not1_b32 exec_lo, exec_lo, s1
	s_cbranch_execz .LBB0_22
.LBB0_8:                                ; =>This Inner Loop Header: Depth=1
	v_add_co_u32 v17, vcc_lo, v17, 1
	s_delay_alu instid0(VALU_DEP_1) | instskip(SKIP_2) | instid1(VALU_DEP_1)
	v_cndmask_b32_e64 v4, 0, 1, vcc_lo
	v_add_co_ci_u32_e32 v18, vcc_lo, 0, v18, vcc_lo
	s_mov_b32 s0, exec_lo
	v_cmp_eq_u32_e32 vcc_lo, 0, v18
	s_delay_alu instid0(VALU_DEP_3) | instskip(NEXT) | instid1(VALU_DEP_1)
	v_cndmask_b32_e32 v4, 0, v4, vcc_lo
	v_add_nc_u32_e32 v38, v4, v38
	s_delay_alu instid0(VALU_DEP_1) | instskip(SKIP_2) | instid1(VALU_DEP_2)
	v_cmp_eq_u32_e32 vcc_lo, 0, v38
	v_mad_u64_u32 v[6:7], null, 0xcd9e8d57, v38, 0
	v_cndmask_b32_e32 v4, 0, v4, vcc_lo
	v_xor3_b32 v9, v7, v11, v18
	s_delay_alu instid0(VALU_DEP_2) | instskip(SKIP_1) | instid1(VALU_DEP_3)
	v_add_nc_u32_e32 v41, v4, v41
	v_mad_u64_u32 v[4:5], null, 0xd2511f53, v17, 0
	v_mad_u64_u32 v[7:8], null, 0xd2511f53, v9, 0
	s_delay_alu instid0(VALU_DEP_2) | instskip(NEXT) | instid1(VALU_DEP_2)
	v_xor_b32_e32 v5, v5, v12
	v_xor3_b32 v8, v19, v8, v4
	s_delay_alu instid0(VALU_DEP_2) | instskip(NEXT) | instid1(VALU_DEP_1)
	v_xor_b32_e32 v5, v41, v5
	v_mad_u64_u32 v[9:10], null, 0xcd9e8d57, v5, 0
	s_delay_alu instid0(VALU_DEP_3) | instskip(NEXT) | instid1(VALU_DEP_2)
	v_mad_u64_u32 v[4:5], null, 0xcd9e8d57, v8, 0
	v_xor3_b32 v6, v20, v10, v6
	s_delay_alu instid0(VALU_DEP_2) | instskip(NEXT) | instid1(VALU_DEP_2)
	v_xor3_b32 v8, v21, v5, v9
	v_mad_u64_u32 v[15:16], null, 0xd2511f53, v6, 0
	s_delay_alu instid0(VALU_DEP_2) | instskip(NEXT) | instid1(VALU_DEP_2)
	v_mad_u64_u32 v[5:6], null, 0xd2511f53, v8, 0
	v_xor3_b32 v9, v22, v16, v7
	s_delay_alu instid0(VALU_DEP_2) | instskip(NEXT) | instid1(VALU_DEP_2)
	v_xor3_b32 v6, v23, v6, v15
	v_mad_u64_u32 v[7:8], null, 0xcd9e8d57, v9, 0
	s_delay_alu instid0(VALU_DEP_1) | instskip(NEXT) | instid1(VALU_DEP_3)
	v_xor3_b32 v4, v24, v8, v4
	v_mad_u64_u32 v[8:9], null, 0xcd9e8d57, v6, 0
	s_delay_alu instid0(VALU_DEP_2) | instskip(NEXT) | instid1(VALU_DEP_2)
	v_mad_u64_u32 v[15:16], null, 0xd2511f53, v4, 0
	v_xor3_b32 v6, v25, v9, v7
	s_delay_alu instid0(VALU_DEP_2) | instskip(NEXT) | instid1(VALU_DEP_2)
	v_xor3_b32 v9, v26, v16, v5
	v_mad_u64_u32 v[4:5], null, 0xd2511f53, v6, 0
	s_delay_alu instid0(VALU_DEP_2) | instskip(NEXT) | instid1(VALU_DEP_2)
	v_mad_u64_u32 v[6:7], null, 0xcd9e8d57, v9, 0
	v_xor3_b32 v5, v27, v5, v15
	s_delay_alu instid0(VALU_DEP_2) | instskip(NEXT) | instid1(VALU_DEP_2)
	;; [unrolled: 6-line block ×6, first 2 shown]
	v_xor3_b32 v4, v6, v7, v34
	v_mov_b32_e32 v6, v10
	v_cmpx_lt_i32_e32 1, v33
	s_xor_b32 s0, exec_lo, s0
	s_cbranch_execnz .LBB0_14
; %bb.9:                                ;   in Loop: Header=BB0_8 Depth=1
	s_and_not1_saveexec_b32 s0, s0
	s_cbranch_execnz .LBB0_19
.LBB0_10:                               ;   in Loop: Header=BB0_8 Depth=1
	s_or_b32 exec_lo, exec_lo, s0
	s_delay_alu instid0(SALU_CYCLE_1)
	s_mov_b32 s18, exec_lo
	v_cmpx_gt_i64_e64 s[4:5], v[13:14]
	s_cbranch_execz .LBB0_12
.LBB0_11:                               ;   in Loop: Header=BB0_8 Depth=1
	v_lshrrev_b32_e32 v1, 11, v1
	s_delay_alu instid0(VALU_DEP_1) | instskip(SKIP_1) | instid1(VALU_DEP_2)
	v_cvt_f64_u32_e32 v[7:8], v1
	v_cvt_f64_u32_e32 v[0:1], v0
	v_ldexp_f64 v[7:8], v[7:8], 32
	s_delay_alu instid0(VALU_DEP_1) | instskip(SKIP_1) | instid1(VALU_DEP_1)
	v_add_f64 v[0:1], v[7:8], v[0:1]
	v_add_nc_u32_e32 v7, s17, v39
	v_ashrrev_i32_e32 v8, 31, v7
	v_add_co_u32 v7, s0, s12, v7
	s_delay_alu instid0(VALU_DEP_1) | instskip(SKIP_1) | instid1(VALU_DEP_1)
	v_add_co_ci_u32_e64 v8, s0, s13, v8, s0
	v_fma_f64 v[0:1], 0x3ca00000, v[0:1], 0x3ca00000
	v_fma_f64 v[0:1], s[8:9], v[0:1], s[10:11]
	s_delay_alu instid0(VALU_DEP_1)
	v_cmp_eq_f64_e32 vcc_lo, s[6:7], v[0:1]
	v_cndmask_b32_e64 v1, v1, s11, vcc_lo
	v_cndmask_b32_e64 v0, v0, s10, vcc_lo
	global_store_b64 v[7:8], v[0:1], off
.LBB0_12:                               ;   in Loop: Header=BB0_8 Depth=1
	s_or_b32 exec_lo, exec_lo, s18
	v_add_co_u32 v0, vcc_lo, s14, v13
	v_add_co_ci_u32_e32 v1, vcc_lo, 0, v14, vcc_lo
	s_mov_b32 s18, exec_lo
	s_delay_alu instid0(VALU_DEP_1)
	v_cmpx_gt_i64_e64 s[4:5], v[0:1]
	s_cbranch_execz .LBB0_7
; %bb.13:                               ;   in Loop: Header=BB0_8 Depth=1
	v_lshrrev_b32_e32 v0, 11, v3
	v_cvt_f64_u32_e32 v[2:3], v2
	s_delay_alu instid0(VALU_DEP_2) | instskip(NEXT) | instid1(VALU_DEP_1)
	v_cvt_f64_u32_e32 v[0:1], v0
	v_ldexp_f64 v[0:1], v[0:1], 32
	s_delay_alu instid0(VALU_DEP_1) | instskip(SKIP_1) | instid1(VALU_DEP_1)
	v_add_f64 v[0:1], v[0:1], v[2:3]
	v_add_nc_u32_e32 v2, s17, v40
	v_ashrrev_i32_e32 v3, 31, v2
	v_add_co_u32 v2, s0, s12, v2
	s_delay_alu instid0(VALU_DEP_1) | instskip(SKIP_1) | instid1(VALU_DEP_1)
	v_add_co_ci_u32_e64 v3, s0, s13, v3, s0
	v_fma_f64 v[0:1], 0x3ca00000, v[0:1], 0x3ca00000
	v_fma_f64 v[0:1], s[8:9], v[0:1], s[10:11]
	s_delay_alu instid0(VALU_DEP_1)
	v_cmp_eq_f64_e32 vcc_lo, s[6:7], v[0:1]
	v_cndmask_b32_e64 v1, v1, s11, vcc_lo
	v_cndmask_b32_e64 v0, v0, s10, vcc_lo
	global_store_b64 v[2:3], v[0:1], off
	s_branch .LBB0_7
.LBB0_14:                               ;   in Loop: Header=BB0_8 Depth=1
	s_mov_b32 s18, exec_lo
	v_cmpx_lt_i32_e32 2, v33
	s_xor_b32 s18, exec_lo, s18
; %bb.15:                               ;   in Loop: Header=BB0_8 Depth=1
	v_dual_mov_b32 v7, v3 :: v_dual_mov_b32 v8, v4
	v_mov_b32_e32 v9, v5
	s_delay_alu instid0(VALU_DEP_2) | instskip(NEXT) | instid1(VALU_DEP_2)
	v_dual_mov_b32 v0, v7 :: v_dual_mov_b32 v1, v8
	v_dual_mov_b32 v2, v9 :: v_dual_mov_b32 v3, v10
; %bb.16:                               ;   in Loop: Header=BB0_8 Depth=1
	s_and_not1_saveexec_b32 s18, s18
; %bb.17:                               ;   in Loop: Header=BB0_8 Depth=1
	s_delay_alu instid0(VALU_DEP_1)
	v_dual_mov_b32 v0, v2 :: v_dual_mov_b32 v1, v3
	v_dual_mov_b32 v2, v4 :: v_dual_mov_b32 v3, v5
; %bb.18:                               ;   in Loop: Header=BB0_8 Depth=1
	s_or_b32 exec_lo, exec_lo, s18
	s_and_not1_saveexec_b32 s0, s0
	s_cbranch_execz .LBB0_10
.LBB0_19:                               ;   in Loop: Header=BB0_8 Depth=1
	s_mov_b32 s18, exec_lo
	v_cmpx_eq_u32_e32 1, v33
; %bb.20:                               ;   in Loop: Header=BB0_8 Depth=1
	v_dual_mov_b32 v0, v1 :: v_dual_mov_b32 v1, v2
	v_dual_mov_b32 v2, v3 :: v_dual_mov_b32 v3, v4
; %bb.21:                               ;   in Loop: Header=BB0_8 Depth=1
	s_or_b32 exec_lo, exec_lo, s18
	s_delay_alu instid0(SALU_CYCLE_1) | instskip(NEXT) | instid1(SALU_CYCLE_1)
	s_or_b32 exec_lo, exec_lo, s0
	s_mov_b32 s18, exec_lo
	v_cmpx_gt_i64_e64 s[4:5], v[13:14]
	s_cbranch_execnz .LBB0_11
	s_branch .LBB0_12
.LBB0_22:
	s_endpgm
.LBB0_23:
                                        ; implicit-def: $sgpr2_sgpr3
	s_branch .LBB0_4
	.section	.rodata,"a",@progbits
	.p2align	6, 0x0
	.amdhsa_kernel _ZN2at6native12_GLOBAL__N_143distribution_elementwise_grid_stride_kernelIdLi2EZNS0_9templates4cuda21uniform_and_transformIddPNS_17CUDAGeneratorImplEZZZNS4_14uniform_kernelIS7_EEvRNS_18TensorIteratorBaseEddT_ENKUlvE_clEvENKUlvE_clEvEUldE_EEvSA_T1_T2_EUlP25hiprandStatePhilox4_32_10E_ZNS1_27distribution_nullary_kernelIdd15HIP_vector_typeIdLj2EES7_SJ_SE_EEvSA_SG_RKT3_T4_EUlidE_EEvlNS_15PhiloxCudaStateESF_SG_
		.amdhsa_group_segment_fixed_size 0
		.amdhsa_private_segment_fixed_size 0
		.amdhsa_kernarg_size 344
		.amdhsa_user_sgpr_count 15
		.amdhsa_user_sgpr_dispatch_ptr 0
		.amdhsa_user_sgpr_queue_ptr 0
		.amdhsa_user_sgpr_kernarg_segment_ptr 1
		.amdhsa_user_sgpr_dispatch_id 0
		.amdhsa_user_sgpr_private_segment_size 0
		.amdhsa_wavefront_size32 1
		.amdhsa_uses_dynamic_stack 0
		.amdhsa_enable_private_segment 0
		.amdhsa_system_sgpr_workgroup_id_x 1
		.amdhsa_system_sgpr_workgroup_id_y 0
		.amdhsa_system_sgpr_workgroup_id_z 0
		.amdhsa_system_sgpr_workgroup_info 0
		.amdhsa_system_vgpr_workitem_id 0
		.amdhsa_next_free_vgpr 42
		.amdhsa_next_free_sgpr 23
		.amdhsa_reserve_vcc 1
		.amdhsa_float_round_mode_32 0
		.amdhsa_float_round_mode_16_64 0
		.amdhsa_float_denorm_mode_32 3
		.amdhsa_float_denorm_mode_16_64 3
		.amdhsa_dx10_clamp 1
		.amdhsa_ieee_mode 1
		.amdhsa_fp16_overflow 0
		.amdhsa_workgroup_processor_mode 1
		.amdhsa_memory_ordered 1
		.amdhsa_forward_progress 0
		.amdhsa_shared_vgpr_count 0
		.amdhsa_exception_fp_ieee_invalid_op 0
		.amdhsa_exception_fp_denorm_src 0
		.amdhsa_exception_fp_ieee_div_zero 0
		.amdhsa_exception_fp_ieee_overflow 0
		.amdhsa_exception_fp_ieee_underflow 0
		.amdhsa_exception_fp_ieee_inexact 0
		.amdhsa_exception_int_div_zero 0
	.end_amdhsa_kernel
	.section	.text._ZN2at6native12_GLOBAL__N_143distribution_elementwise_grid_stride_kernelIdLi2EZNS0_9templates4cuda21uniform_and_transformIddPNS_17CUDAGeneratorImplEZZZNS4_14uniform_kernelIS7_EEvRNS_18TensorIteratorBaseEddT_ENKUlvE_clEvENKUlvE_clEvEUldE_EEvSA_T1_T2_EUlP25hiprandStatePhilox4_32_10E_ZNS1_27distribution_nullary_kernelIdd15HIP_vector_typeIdLj2EES7_SJ_SE_EEvSA_SG_RKT3_T4_EUlidE_EEvlNS_15PhiloxCudaStateESF_SG_,"axG",@progbits,_ZN2at6native12_GLOBAL__N_143distribution_elementwise_grid_stride_kernelIdLi2EZNS0_9templates4cuda21uniform_and_transformIddPNS_17CUDAGeneratorImplEZZZNS4_14uniform_kernelIS7_EEvRNS_18TensorIteratorBaseEddT_ENKUlvE_clEvENKUlvE_clEvEUldE_EEvSA_T1_T2_EUlP25hiprandStatePhilox4_32_10E_ZNS1_27distribution_nullary_kernelIdd15HIP_vector_typeIdLj2EES7_SJ_SE_EEvSA_SG_RKT3_T4_EUlidE_EEvlNS_15PhiloxCudaStateESF_SG_,comdat
.Lfunc_end0:
	.size	_ZN2at6native12_GLOBAL__N_143distribution_elementwise_grid_stride_kernelIdLi2EZNS0_9templates4cuda21uniform_and_transformIddPNS_17CUDAGeneratorImplEZZZNS4_14uniform_kernelIS7_EEvRNS_18TensorIteratorBaseEddT_ENKUlvE_clEvENKUlvE_clEvEUldE_EEvSA_T1_T2_EUlP25hiprandStatePhilox4_32_10E_ZNS1_27distribution_nullary_kernelIdd15HIP_vector_typeIdLj2EES7_SJ_SE_EEvSA_SG_RKT3_T4_EUlidE_EEvlNS_15PhiloxCudaStateESF_SG_, .Lfunc_end0-_ZN2at6native12_GLOBAL__N_143distribution_elementwise_grid_stride_kernelIdLi2EZNS0_9templates4cuda21uniform_and_transformIddPNS_17CUDAGeneratorImplEZZZNS4_14uniform_kernelIS7_EEvRNS_18TensorIteratorBaseEddT_ENKUlvE_clEvENKUlvE_clEvEUldE_EEvSA_T1_T2_EUlP25hiprandStatePhilox4_32_10E_ZNS1_27distribution_nullary_kernelIdd15HIP_vector_typeIdLj2EES7_SJ_SE_EEvSA_SG_RKT3_T4_EUlidE_EEvlNS_15PhiloxCudaStateESF_SG_
                                        ; -- End function
	.section	.AMDGPU.csdata,"",@progbits
; Kernel info:
; codeLenInByte = 2792
; NumSgprs: 25
; NumVgprs: 42
; ScratchSize: 0
; MemoryBound: 0
; FloatMode: 240
; IeeeMode: 1
; LDSByteSize: 0 bytes/workgroup (compile time only)
; SGPRBlocks: 3
; VGPRBlocks: 5
; NumSGPRsForWavesPerEU: 25
; NumVGPRsForWavesPerEU: 42
; Occupancy: 16
; WaveLimiterHint : 0
; COMPUTE_PGM_RSRC2:SCRATCH_EN: 0
; COMPUTE_PGM_RSRC2:USER_SGPR: 15
; COMPUTE_PGM_RSRC2:TRAP_HANDLER: 0
; COMPUTE_PGM_RSRC2:TGID_X_EN: 1
; COMPUTE_PGM_RSRC2:TGID_Y_EN: 0
; COMPUTE_PGM_RSRC2:TGID_Z_EN: 0
; COMPUTE_PGM_RSRC2:TIDIG_COMP_CNT: 0
	.section	.text._ZN2at6native12_GLOBAL__N_143distribution_elementwise_grid_stride_kernelIdLi2EZNS0_9templates4cuda21uniform_and_transformIddPNS_17CUDAGeneratorImplEZZZNS4_14uniform_kernelIS7_EEvRNS_18TensorIteratorBaseEddT_ENKUlvE_clEvENKUlvE_clEvEUldE_EEvSA_T1_T2_EUlP25hiprandStatePhilox4_32_10E_ZNS1_27distribution_nullary_kernelIdd15HIP_vector_typeIdLj2EES7_SJ_SE_EEvSA_SG_RKT3_T4_EUlidE0_EEvlNS_15PhiloxCudaStateESF_SG_,"axG",@progbits,_ZN2at6native12_GLOBAL__N_143distribution_elementwise_grid_stride_kernelIdLi2EZNS0_9templates4cuda21uniform_and_transformIddPNS_17CUDAGeneratorImplEZZZNS4_14uniform_kernelIS7_EEvRNS_18TensorIteratorBaseEddT_ENKUlvE_clEvENKUlvE_clEvEUldE_EEvSA_T1_T2_EUlP25hiprandStatePhilox4_32_10E_ZNS1_27distribution_nullary_kernelIdd15HIP_vector_typeIdLj2EES7_SJ_SE_EEvSA_SG_RKT3_T4_EUlidE0_EEvlNS_15PhiloxCudaStateESF_SG_,comdat
	.globl	_ZN2at6native12_GLOBAL__N_143distribution_elementwise_grid_stride_kernelIdLi2EZNS0_9templates4cuda21uniform_and_transformIddPNS_17CUDAGeneratorImplEZZZNS4_14uniform_kernelIS7_EEvRNS_18TensorIteratorBaseEddT_ENKUlvE_clEvENKUlvE_clEvEUldE_EEvSA_T1_T2_EUlP25hiprandStatePhilox4_32_10E_ZNS1_27distribution_nullary_kernelIdd15HIP_vector_typeIdLj2EES7_SJ_SE_EEvSA_SG_RKT3_T4_EUlidE0_EEvlNS_15PhiloxCudaStateESF_SG_ ; -- Begin function _ZN2at6native12_GLOBAL__N_143distribution_elementwise_grid_stride_kernelIdLi2EZNS0_9templates4cuda21uniform_and_transformIddPNS_17CUDAGeneratorImplEZZZNS4_14uniform_kernelIS7_EEvRNS_18TensorIteratorBaseEddT_ENKUlvE_clEvENKUlvE_clEvEUldE_EEvSA_T1_T2_EUlP25hiprandStatePhilox4_32_10E_ZNS1_27distribution_nullary_kernelIdd15HIP_vector_typeIdLj2EES7_SJ_SE_EEvSA_SG_RKT3_T4_EUlidE0_EEvlNS_15PhiloxCudaStateESF_SG_
	.p2align	8
	.type	_ZN2at6native12_GLOBAL__N_143distribution_elementwise_grid_stride_kernelIdLi2EZNS0_9templates4cuda21uniform_and_transformIddPNS_17CUDAGeneratorImplEZZZNS4_14uniform_kernelIS7_EEvRNS_18TensorIteratorBaseEddT_ENKUlvE_clEvENKUlvE_clEvEUldE_EEvSA_T1_T2_EUlP25hiprandStatePhilox4_32_10E_ZNS1_27distribution_nullary_kernelIdd15HIP_vector_typeIdLj2EES7_SJ_SE_EEvSA_SG_RKT3_T4_EUlidE0_EEvlNS_15PhiloxCudaStateESF_SG_,@function
_ZN2at6native12_GLOBAL__N_143distribution_elementwise_grid_stride_kernelIdLi2EZNS0_9templates4cuda21uniform_and_transformIddPNS_17CUDAGeneratorImplEZZZNS4_14uniform_kernelIS7_EEvRNS_18TensorIteratorBaseEddT_ENKUlvE_clEvENKUlvE_clEvEUldE_EEvSA_T1_T2_EUlP25hiprandStatePhilox4_32_10E_ZNS1_27distribution_nullary_kernelIdd15HIP_vector_typeIdLj2EES7_SJ_SE_EEvSA_SG_RKT3_T4_EUlidE0_EEvlNS_15PhiloxCudaStateESF_SG_: ; @_ZN2at6native12_GLOBAL__N_143distribution_elementwise_grid_stride_kernelIdLi2EZNS0_9templates4cuda21uniform_and_transformIddPNS_17CUDAGeneratorImplEZZZNS4_14uniform_kernelIS7_EEvRNS_18TensorIteratorBaseEddT_ENKUlvE_clEvENKUlvE_clEvEUldE_EEvSA_T1_T2_EUlP25hiprandStatePhilox4_32_10E_ZNS1_27distribution_nullary_kernelIdd15HIP_vector_typeIdLj2EES7_SJ_SE_EEvSA_SG_RKT3_T4_EUlidE0_EEvlNS_15PhiloxCudaStateESF_SG_
; %bb.0:
	s_clause 0x2
	s_load_b64 s[4:5], s[0:1], 0x10
	s_load_b128 s[20:23], s[0:1], 0x0
	s_load_b32 s2, s[0:1], 0x20
	s_waitcnt lgkmcnt(0)
	v_dual_mov_b32 v2, s4 :: v_dual_mov_b32 v3, s5
	v_dual_mov_b32 v11, s22 :: v_dual_mov_b32 v12, s23
	s_bitcmp0_b32 s2, 0
	s_mov_b32 s2, 0
	s_cbranch_scc1 .LBB1_2
; %bb.1:
	v_dual_mov_b32 v1, s4 :: v_dual_mov_b32 v2, s5
	v_dual_mov_b32 v4, s22 :: v_dual_mov_b32 v5, s23
	s_load_b64 s[4:5], s[0:1], 0x18
	flat_load_b64 v[2:3], v[1:2]
	flat_load_b64 v[11:12], v[4:5]
	s_waitcnt vmcnt(1) lgkmcnt(0)
	v_add_co_u32 v2, vcc_lo, v2, s4
	v_add_co_ci_u32_e32 v3, vcc_lo, s5, v3, vcc_lo
.LBB1_2:
	s_clause 0x1
	s_load_b32 s3, s[0:1], 0x164
	s_load_b32 s4, s[0:1], 0x158
	s_waitcnt lgkmcnt(0)
	s_and_b32 s5, s3, 0xffff
	s_add_u32 s6, s20, -1
	s_mul_i32 s30, s4, s5
	s_addc_u32 s3, s21, -1
	s_lshl_b32 s31, s30, 1
	s_cmp_lg_u64 s[2:3], 0
	s_cbranch_scc0 .LBB1_49
; %bb.3:
	v_cvt_f32_ubyte0_e32 v1, 0
	v_cvt_f32_u32_e32 v4, s31
	s_sub_u32 s8, 0, s31
	s_subb_u32 s9, 0, 0
	s_delay_alu instid0(VALU_DEP_1) | instskip(NEXT) | instid1(VALU_DEP_1)
	v_fmamk_f32 v1, v1, 0x4f800000, v4
	v_rcp_f32_e32 v1, v1
	s_waitcnt_depctr 0xfff
	v_mul_f32_e32 v1, 0x5f7ffffc, v1
	s_delay_alu instid0(VALU_DEP_1) | instskip(NEXT) | instid1(VALU_DEP_1)
	v_mul_f32_e32 v4, 0x2f800000, v1
	v_trunc_f32_e32 v4, v4
	s_delay_alu instid0(VALU_DEP_1) | instskip(SKIP_1) | instid1(VALU_DEP_2)
	v_fmamk_f32 v1, v4, 0xcf800000, v1
	v_cvt_u32_f32_e32 v4, v4
	v_cvt_u32_f32_e32 v1, v1
	s_delay_alu instid0(VALU_DEP_2) | instskip(NEXT) | instid1(VALU_DEP_2)
	v_readfirstlane_b32 s2, v4
	v_readfirstlane_b32 s7, v1
	s_delay_alu instid0(VALU_DEP_2) | instskip(NEXT) | instid1(VALU_DEP_1)
	s_mul_i32 s10, s8, s2
	s_mul_hi_u32 s12, s8, s7
	s_mul_i32 s11, s9, s7
	s_add_i32 s10, s12, s10
	s_mul_i32 s13, s8, s7
	s_add_i32 s10, s10, s11
	s_mul_hi_u32 s12, s7, s13
	s_mul_hi_u32 s14, s2, s13
	s_mul_i32 s11, s2, s13
	s_mul_hi_u32 s13, s7, s10
	s_mul_i32 s7, s7, s10
	s_mul_hi_u32 s16, s2, s10
	s_add_u32 s7, s12, s7
	s_addc_u32 s12, 0, s13
	s_add_u32 s7, s7, s11
	s_mul_i32 s10, s2, s10
	s_addc_u32 s7, s12, s14
	s_addc_u32 s11, s16, 0
	s_add_u32 s7, s7, s10
	s_addc_u32 s10, 0, s11
	v_add_co_u32 v1, s7, v1, s7
	s_delay_alu instid0(VALU_DEP_1) | instskip(SKIP_1) | instid1(VALU_DEP_1)
	s_cmp_lg_u32 s7, 0
	s_addc_u32 s2, s2, s10
	v_readfirstlane_b32 s7, v1
	s_mul_i32 s10, s8, s2
	s_delay_alu instid0(VALU_DEP_1)
	s_mul_hi_u32 s11, s8, s7
	s_mul_i32 s9, s9, s7
	s_add_i32 s10, s11, s10
	s_mul_i32 s8, s8, s7
	s_add_i32 s10, s10, s9
	s_mul_hi_u32 s11, s2, s8
	s_mul_i32 s12, s2, s8
	s_mul_hi_u32 s8, s7, s8
	s_mul_hi_u32 s13, s7, s10
	s_mul_i32 s7, s7, s10
	s_mul_hi_u32 s9, s2, s10
	s_add_u32 s7, s8, s7
	s_addc_u32 s8, 0, s13
	s_add_u32 s7, s7, s12
	s_mul_i32 s10, s2, s10
	s_addc_u32 s7, s8, s11
	s_addc_u32 s8, s9, 0
	s_add_u32 s7, s7, s10
	s_addc_u32 s8, 0, s8
	v_add_co_u32 v1, s7, v1, s7
	s_delay_alu instid0(VALU_DEP_1) | instskip(SKIP_2) | instid1(VALU_DEP_1)
	s_cmp_lg_u32 s7, 0
	s_addc_u32 s7, s2, s8
	s_ashr_i32 s8, s3, 31
	v_readfirstlane_b32 s10, v1
	s_add_u32 s2, s6, s8
	s_mov_b32 s9, s8
	s_addc_u32 s3, s3, s8
	s_delay_alu instid0(SALU_CYCLE_1) | instskip(NEXT) | instid1(SALU_CYCLE_1)
	s_xor_b64 s[2:3], s[2:3], s[8:9]
	s_mul_i32 s12, s2, s7
	s_mul_hi_u32 s13, s2, s10
	s_mul_hi_u32 s11, s2, s7
	;; [unrolled: 1-line block ×3, first 2 shown]
	s_mul_i32 s10, s3, s10
	s_add_u32 s12, s13, s12
	s_addc_u32 s11, 0, s11
	s_mul_hi_u32 s14, s3, s7
	s_add_u32 s10, s12, s10
	s_mul_i32 s7, s3, s7
	s_addc_u32 s10, s11, s16
	s_addc_u32 s11, s14, 0
	s_add_u32 s7, s10, s7
	s_addc_u32 s10, 0, s11
	s_mul_i32 s12, s31, s7
	s_add_u32 s11, s7, 1
	v_sub_co_u32 v1, s2, s2, s12
	s_mul_hi_u32 s12, s31, s7
	s_addc_u32 s13, s10, 0
	s_mul_i32 s14, s31, s10
	s_delay_alu instid0(VALU_DEP_1)
	v_sub_co_u32 v4, s16, v1, s31
	s_add_u32 s17, s7, 2
	s_addc_u32 s18, s10, 0
	s_add_i32 s12, s12, s14
	s_cmp_lg_u32 s2, 0
	v_readfirstlane_b32 s2, v4
	s_subb_u32 s3, s3, s12
	s_cmp_lg_u32 s16, 0
	s_subb_u32 s12, s3, 0
	s_delay_alu instid0(VALU_DEP_1) | instskip(SKIP_4) | instid1(SALU_CYCLE_1)
	s_cmp_ge_u32 s2, s31
	s_cselect_b32 s2, -1, 0
	s_cmp_eq_u32 s12, 0
	v_readfirstlane_b32 s12, v1
	s_cselect_b32 s2, s2, -1
	s_cmp_lg_u32 s2, 0
	s_cselect_b32 s2, s17, s11
	s_cselect_b32 s11, s18, s13
	s_cmp_ge_u32 s12, s31
	s_cselect_b32 s12, -1, 0
	s_cmp_eq_u32 s3, 0
	s_cselect_b32 s3, s12, -1
	s_delay_alu instid0(SALU_CYCLE_1) | instskip(SKIP_2) | instid1(SALU_CYCLE_1)
	s_cmp_lg_u32 s3, 0
	s_cselect_b32 s3, s11, s10
	s_cselect_b32 s2, s2, s7
	s_xor_b64 s[2:3], s[2:3], s[8:9]
	s_delay_alu instid0(SALU_CYCLE_1)
	s_sub_u32 s2, s2, s8
	s_subb_u32 s3, s3, s8
	s_cbranch_execnz .LBB1_5
.LBB1_4:
	v_cvt_f32_u32_e32 v1, s31
	s_sub_i32 s3, 0, s31
	s_delay_alu instid0(VALU_DEP_1) | instskip(SKIP_2) | instid1(VALU_DEP_1)
	v_rcp_iflag_f32_e32 v1, v1
	s_waitcnt_depctr 0xfff
	v_mul_f32_e32 v1, 0x4f7ffffe, v1
	v_cvt_u32_f32_e32 v1, v1
	s_delay_alu instid0(VALU_DEP_1) | instskip(NEXT) | instid1(VALU_DEP_1)
	v_readfirstlane_b32 s2, v1
	s_mul_i32 s3, s3, s2
	s_delay_alu instid0(SALU_CYCLE_1) | instskip(NEXT) | instid1(SALU_CYCLE_1)
	s_mul_hi_u32 s3, s2, s3
	s_add_i32 s2, s2, s3
	s_delay_alu instid0(SALU_CYCLE_1) | instskip(NEXT) | instid1(SALU_CYCLE_1)
	s_mul_hi_u32 s2, s6, s2
	s_mul_i32 s3, s2, s31
	s_delay_alu instid0(SALU_CYCLE_1)
	s_sub_i32 s3, s6, s3
	s_add_i32 s6, s2, 1
	s_sub_i32 s7, s3, s31
	s_cmp_ge_u32 s3, s31
	s_cselect_b32 s2, s6, s2
	s_cselect_b32 s3, s7, s3
	s_add_i32 s6, s2, 1
	s_cmp_ge_u32 s3, s31
	s_mov_b32 s3, 0
	s_cselect_b32 s2, s6, s2
.LBB1_5:
	v_mov_b32_e32 v1, 0
	s_add_u32 s2, s2, 1
	s_addc_u32 s3, s3, 0
	s_mul_hi_u32 s6, s30, s2
	s_mul_i32 s3, s30, s3
	v_mad_u64_u32 v[13:14], null, s5, s15, v[0:1]
	s_mul_hi_u32 s4, s4, s5
	s_add_i32 s3, s6, s3
	s_mul_i32 s4, s4, s2
	s_mul_i32 s2, s30, s2
	s_add_i32 s3, s3, s4
	s_mov_b32 s4, exec_lo
	s_lshl_b64 s[2:3], s[2:3], 1
	s_delay_alu instid0(SALU_CYCLE_1)
	v_cmpx_gt_i64_e64 s[2:3], v[13:14]
	s_cbranch_execz .LBB1_48
; %bb.6:
	v_alignbit_b32 v17, v3, v2, 2
	v_mad_u64_u32 v[4:5], null, 0xcd9e8d57, v13, 0
	v_lshrrev_b32_e32 v18, 2, v3
	s_waitcnt vmcnt(0)
	v_dual_mov_b32 v9, v12 :: v_dual_add_nc_u32 v28, 0x8ff34781, v11
	v_mad_u64_u32 v[0:1], null, 0xd2511f53, v17, 0
	v_add_co_u32 v20, null, 0x9e3779b9, v11
	v_xor3_b32 v3, v11, v5, v18
	s_delay_alu instid0(VALU_DEP_4) | instskip(SKIP_2) | instid1(VALU_DEP_4)
	v_add_co_u32 v19, null, 0xbb67ae85, v9
	v_add_co_u32 v21, null, 0x3c6ef372, v11
	v_xor_b32_e32 v1, v1, v12
	v_mad_u64_u32 v[5:6], null, 0xd2511f53, v3, 0
	v_add_co_u32 v22, null, 0x76cf5d0a, v9
	s_delay_alu instid0(VALU_DEP_3) | instskip(SKIP_2) | instid1(VALU_DEP_3)
	v_xor_b32_e32 v1, v1, v14
	v_add_co_u32 v23, null, 0x32370b8f, v9
	v_add_co_u32 v24, null, 0xdaa66d2b, v11
	v_mad_u64_u32 v[7:8], null, 0xcd9e8d57, v1, 0
	v_xor3_b32 v3, v19, v6, v0
	v_add_co_u32 v25, null, 0x78dde6e4, v11
	v_add_co_u32 v26, null, 0xed9eba14, v9
	s_delay_alu instid0(VALU_DEP_3) | instskip(SKIP_3) | instid1(VALU_DEP_3)
	v_mad_u64_u32 v[0:1], null, 0xcd9e8d57, v3, 0
	v_xor3_b32 v6, v20, v8, v4
	v_dual_mov_b32 v38, v13 :: v_dual_and_b32 v27, 3, v2
	v_add_co_u32 v29, null, 0xa9066899, v9
	v_mad_u64_u32 v[3:4], null, 0xd2511f53, v6, 0
	v_xor3_b32 v1, v21, v1, v7
	v_add_co_u32 v30, null, 0x1715609d, v11
	v_add_co_u32 v32, null, 0xb54cda56, v11
	;; [unrolled: 1-line block ×3, first 2 shown]
	v_xor3_b32 v8, v22, v4, v5
	v_mad_u64_u32 v[4:5], null, 0xd2511f53, v1, 0
	s_load_b256 s[4:11], s[0:1], 0x30
	v_add_co_u32 v31, null, 0x5384540f, v11
	s_delay_alu instid0(VALU_DEP_3) | instskip(SKIP_1) | instid1(VALU_DEP_4)
	v_mad_u64_u32 v[6:7], null, 0xcd9e8d57, v8, 0
	v_add_co_u32 v35, null, 0x1fd5c5a3, v9
	v_xor3_b32 v3, v23, v5, v3
	v_add_co_u32 v34, null, 0xf1bbcdc8, v11
	v_add_co_u32 v36, null, 0xdb3d7428, v9
	v_xor3_b32 v5, v24, v7, v0
	s_delay_alu instid0(VALU_DEP_4) | instskip(SKIP_2) | instid1(VALU_DEP_2)
	v_mad_u64_u32 v[0:1], null, 0xcd9e8d57, v3, 0
	s_add_u32 s22, s0, 48
	s_load_b64 s[24:25], s[0:1], 0xf4
	v_mad_u64_u32 v[7:8], null, 0xd2511f53, v5, 0
	s_load_b256 s[12:19], s[0:1], 0x138
	s_addc_u32 s23, s1, 0
	s_delay_alu instid0(VALU_DEP_2)
	v_xor3_b32 v3, v25, v1, v6
	s_waitcnt lgkmcnt(0)
	s_add_i32 s26, s4, -1
	v_add_nc_u32_e32 v37, 0x96a522ad, v12
	s_cmp_gt_u32 s26, 1
	v_xor3_b32 v5, v26, v8, v4
	v_mad_u64_u32 v[1:2], null, 0xd2511f53, v3, 0
	s_cselect_b32 s11, -1, 0
	s_cmp_lg_u32 s4, 0
	s_delay_alu instid0(VALU_DEP_2) | instskip(SKIP_2) | instid1(VALU_DEP_2)
	v_mad_u64_u32 v[3:4], null, 0xcd9e8d57, v5, 0
	s_cselect_b32 s34, -1, 0
	s_add_u32 s0, s0, 0xf4
	v_xor3_b32 v2, v29, v2, v7
	s_addc_u32 s1, s1, 0
	s_min_u32 s27, s26, 15
	s_cmp_gt_u32 s4, 1
	s_delay_alu instid0(VALU_DEP_2) | instskip(SKIP_3) | instid1(VALU_DEP_2)
	v_xor3_b32 v0, v30, v4, v0
	v_mad_u64_u32 v[4:5], null, 0xcd9e8d57, v2, 0
	s_cselect_b32 s4, -1, 0
	s_add_i32 s27, s27, 1
	v_mad_u64_u32 v[6:7], null, 0xd2511f53, v0, 0
	s_and_b32 s35, s27, 3
	s_cmp_lg_u32 s26, 2
	s_delay_alu instid0(VALU_DEP_2) | instskip(SKIP_3) | instid1(VALU_DEP_3)
	v_xor3_b32 v2, v32, v5, v3
	s_cselect_b32 s36, -1, 0
	s_and_b32 s37, s27, 28
	v_mov_b32_e32 v39, v14
	v_xor3_b32 v5, v33, v7, v1
	v_mad_u64_u32 v[0:1], null, 0xd2511f53, v2, 0
	s_cmp_lg_u32 s35, 0
	s_mov_b32 s33, 0
	s_delay_alu instid0(VALU_DEP_2) | instskip(SKIP_1) | instid1(VALU_DEP_2)
	v_mad_u64_u32 v[2:3], null, 0xcd9e8d57, v5, 0
	s_cselect_b32 s38, -1, 0
	v_xor3_b32 v1, v35, v1, v6
	s_delay_alu instid0(VALU_DEP_2) | instskip(NEXT) | instid1(VALU_DEP_2)
	v_xor3_b32 v3, v31, v3, v4
	v_mad_u64_u32 v[4:5], null, 0xcd9e8d57, v1, 0
	s_delay_alu instid0(VALU_DEP_2) | instskip(NEXT) | instid1(VALU_DEP_2)
	v_mad_u64_u32 v[6:7], null, 0xd2511f53, v3, 0
	v_xor3_b32 v1, v34, v5, v2
	s_delay_alu instid0(VALU_DEP_2) | instskip(NEXT) | instid1(VALU_DEP_2)
	v_xor3_b32 v0, v36, v7, v0
	v_mad_u64_u32 v[7:8], null, 0xd2511f53, v1, 0
	s_delay_alu instid0(VALU_DEP_2) | instskip(NEXT) | instid1(VALU_DEP_2)
	v_mad_u64_u32 v[1:2], null, 0xcd9e8d57, v0, 0
	v_mov_b32_e32 v3, v7
	s_delay_alu instid0(VALU_DEP_2) | instskip(NEXT) | instid1(VALU_DEP_4)
	v_xor3_b32 v0, v2, v4, v28
	v_xor3_b32 v2, v8, v6, v37
	s_branch .LBB1_9
.LBB1_7:                                ;   in Loop: Header=BB1_9 Depth=1
	v_lshrrev_b32_e32 v0, 11, v3
	v_cvt_f64_u32_e32 v[2:3], v2
	s_delay_alu instid0(VALU_DEP_2) | instskip(NEXT) | instid1(VALU_DEP_1)
	v_cvt_f64_u32_e32 v[7:8], v0
	v_ldexp_f64 v[7:8], v[7:8], 32
	s_delay_alu instid0(VALU_DEP_1) | instskip(NEXT) | instid1(VALU_DEP_1)
	v_add_f64 v[2:3], v[7:8], v[2:3]
	v_fma_f64 v[2:3], 0x3ca00000, v[2:3], 0x3ca00000
	s_delay_alu instid0(VALU_DEP_1) | instskip(NEXT) | instid1(VALU_DEP_1)
	v_fma_f64 v[2:3], v[2:3], s[14:15], s[16:17]
	v_cmp_eq_f64_e32 vcc_lo, s[18:19], v[2:3]
	v_cndmask_b32_e64 v3, v3, s17, vcc_lo
	v_cndmask_b32_e64 v2, v2, s16, vcc_lo
	global_store_b64 v1, v[2:3], s[12:13]
.LBB1_8:                                ;   in Loop: Header=BB1_9 Depth=1
	s_or_b32 exec_lo, exec_lo, s39
	v_add_co_u32 v13, vcc_lo, v13, s31
	v_add_co_ci_u32_e32 v14, vcc_lo, 0, v14, vcc_lo
	v_mov_b32_e32 v7, v15
	v_dual_mov_b32 v0, v4 :: v_dual_mov_b32 v1, v5
	s_delay_alu instid0(VALU_DEP_3) | instskip(NEXT) | instid1(VALU_DEP_3)
	v_cmp_le_i64_e32 vcc_lo, s[2:3], v[13:14]
	v_dual_mov_b32 v2, v6 :: v_dual_mov_b32 v3, v7
	s_waitcnt_vscnt null, 0x0
	s_barrier
	buffer_gl0_inv
	s_or_b32 s33, vcc_lo, s33
	s_delay_alu instid0(SALU_CYCLE_1)
	s_and_not1_b32 exec_lo, exec_lo, s33
	s_cbranch_execz .LBB1_48
.LBB1_9:                                ; =>This Loop Header: Depth=1
                                        ;     Child Loop BB1_24 Depth 2
                                        ;     Child Loop BB1_29 Depth 2
	;; [unrolled: 1-line block ×4, first 2 shown]
	v_add_co_u32 v17, vcc_lo, v17, 1
	s_delay_alu instid0(VALU_DEP_1) | instskip(SKIP_2) | instid1(VALU_DEP_1)
	v_cndmask_b32_e64 v4, 0, 1, vcc_lo
	v_add_co_ci_u32_e32 v18, vcc_lo, 0, v18, vcc_lo
	s_mov_b32 s26, exec_lo
	v_cmp_eq_u32_e32 vcc_lo, 0, v18
	s_delay_alu instid0(VALU_DEP_3) | instskip(NEXT) | instid1(VALU_DEP_1)
	v_cndmask_b32_e32 v4, 0, v4, vcc_lo
	v_add_nc_u32_e32 v38, v4, v38
	s_delay_alu instid0(VALU_DEP_1) | instskip(SKIP_2) | instid1(VALU_DEP_2)
	v_cmp_eq_u32_e32 vcc_lo, 0, v38
	v_mad_u64_u32 v[6:7], null, 0xcd9e8d57, v38, 0
	v_cndmask_b32_e32 v4, 0, v4, vcc_lo
	v_xor3_b32 v9, v7, v11, v18
	s_delay_alu instid0(VALU_DEP_2) | instskip(SKIP_1) | instid1(VALU_DEP_3)
	v_add_nc_u32_e32 v39, v4, v39
	v_mad_u64_u32 v[4:5], null, 0xd2511f53, v17, 0
	v_mad_u64_u32 v[7:8], null, 0xd2511f53, v9, 0
	s_delay_alu instid0(VALU_DEP_2) | instskip(NEXT) | instid1(VALU_DEP_2)
	v_xor_b32_e32 v5, v5, v12
	v_xor3_b32 v8, v19, v8, v4
	s_delay_alu instid0(VALU_DEP_2) | instskip(NEXT) | instid1(VALU_DEP_1)
	v_xor_b32_e32 v5, v39, v5
	v_mad_u64_u32 v[9:10], null, 0xcd9e8d57, v5, 0
	s_delay_alu instid0(VALU_DEP_3) | instskip(NEXT) | instid1(VALU_DEP_2)
	v_mad_u64_u32 v[4:5], null, 0xcd9e8d57, v8, 0
	v_xor3_b32 v6, v20, v10, v6
	s_delay_alu instid0(VALU_DEP_2) | instskip(NEXT) | instid1(VALU_DEP_2)
	v_xor3_b32 v8, v21, v5, v9
	v_mad_u64_u32 v[15:16], null, 0xd2511f53, v6, 0
	s_delay_alu instid0(VALU_DEP_2) | instskip(NEXT) | instid1(VALU_DEP_2)
	v_mad_u64_u32 v[5:6], null, 0xd2511f53, v8, 0
	v_xor3_b32 v9, v22, v16, v7
	s_delay_alu instid0(VALU_DEP_2) | instskip(NEXT) | instid1(VALU_DEP_2)
	v_xor3_b32 v6, v23, v6, v15
	v_mad_u64_u32 v[7:8], null, 0xcd9e8d57, v9, 0
	s_delay_alu instid0(VALU_DEP_1) | instskip(NEXT) | instid1(VALU_DEP_3)
	v_xor3_b32 v4, v24, v8, v4
	v_mad_u64_u32 v[8:9], null, 0xcd9e8d57, v6, 0
	s_delay_alu instid0(VALU_DEP_2) | instskip(NEXT) | instid1(VALU_DEP_2)
	v_mad_u64_u32 v[15:16], null, 0xd2511f53, v4, 0
	v_xor3_b32 v6, v25, v9, v7
	s_delay_alu instid0(VALU_DEP_2) | instskip(NEXT) | instid1(VALU_DEP_2)
	v_xor3_b32 v9, v26, v16, v5
	v_mad_u64_u32 v[4:5], null, 0xd2511f53, v6, 0
	s_delay_alu instid0(VALU_DEP_2) | instskip(NEXT) | instid1(VALU_DEP_2)
	v_mad_u64_u32 v[6:7], null, 0xcd9e8d57, v9, 0
	v_xor3_b32 v5, v29, v5, v15
	s_delay_alu instid0(VALU_DEP_2) | instskip(NEXT) | instid1(VALU_DEP_2)
	;; [unrolled: 6-line block ×6, first 2 shown]
	v_xor3_b32 v4, v6, v7, v28
	v_mov_b32_e32 v6, v10
	v_cmpx_lt_i32_e32 1, v27
	s_xor_b32 s26, exec_lo, s26
	s_cbranch_execnz .LBB1_12
; %bb.10:                               ;   in Loop: Header=BB1_9 Depth=1
	s_and_not1_saveexec_b32 s26, s26
	s_cbranch_execnz .LBB1_17
.LBB1_11:                               ;   in Loop: Header=BB1_9 Depth=1
	s_or_b32 exec_lo, exec_lo, s26
	s_delay_alu instid0(SALU_CYCLE_1)
	s_mov_b32 s39, exec_lo
	v_cmpx_gt_i64_e64 s[20:21], v[13:14]
	s_cbranch_execnz .LBB1_20
	s_branch .LBB1_34
.LBB1_12:                               ;   in Loop: Header=BB1_9 Depth=1
	s_mov_b32 s27, exec_lo
	v_cmpx_lt_i32_e32 2, v27
	s_xor_b32 s27, exec_lo, s27
; %bb.13:                               ;   in Loop: Header=BB1_9 Depth=1
	v_dual_mov_b32 v7, v3 :: v_dual_mov_b32 v8, v4
	v_mov_b32_e32 v9, v5
	s_delay_alu instid0(VALU_DEP_2) | instskip(NEXT) | instid1(VALU_DEP_2)
	v_dual_mov_b32 v0, v7 :: v_dual_mov_b32 v1, v8
	v_dual_mov_b32 v2, v9 :: v_dual_mov_b32 v3, v10
; %bb.14:                               ;   in Loop: Header=BB1_9 Depth=1
	s_and_not1_saveexec_b32 s27, s27
; %bb.15:                               ;   in Loop: Header=BB1_9 Depth=1
	s_delay_alu instid0(VALU_DEP_1)
	v_dual_mov_b32 v0, v2 :: v_dual_mov_b32 v1, v3
	v_dual_mov_b32 v2, v4 :: v_dual_mov_b32 v3, v5
; %bb.16:                               ;   in Loop: Header=BB1_9 Depth=1
	s_or_b32 exec_lo, exec_lo, s27
	s_and_not1_saveexec_b32 s26, s26
	s_cbranch_execz .LBB1_11
.LBB1_17:                               ;   in Loop: Header=BB1_9 Depth=1
	s_mov_b32 s27, exec_lo
	v_cmpx_eq_u32_e32 1, v27
; %bb.18:                               ;   in Loop: Header=BB1_9 Depth=1
	v_dual_mov_b32 v0, v1 :: v_dual_mov_b32 v1, v2
	v_dual_mov_b32 v2, v3 :: v_dual_mov_b32 v3, v4
; %bb.19:                               ;   in Loop: Header=BB1_9 Depth=1
	s_or_b32 exec_lo, exec_lo, s27
	s_delay_alu instid0(SALU_CYCLE_1) | instskip(NEXT) | instid1(SALU_CYCLE_1)
	s_or_b32 exec_lo, exec_lo, s26
	s_mov_b32 s39, exec_lo
	v_cmpx_gt_i64_e64 s[20:21], v[13:14]
	s_cbranch_execz .LBB1_34
.LBB1_20:                               ;   in Loop: Header=BB1_9 Depth=1
	s_and_not1_b32 vcc_lo, exec_lo, s11
	s_cbranch_vccnz .LBB1_26
; %bb.21:                               ;   in Loop: Header=BB1_9 Depth=1
	v_mov_b32_e32 v7, 0
	s_and_not1_b32 vcc_lo, exec_lo, s34
	s_cbranch_vccnz .LBB1_30
; %bb.22:                               ;   in Loop: Header=BB1_9 Depth=1
	s_and_not1_b32 vcc_lo, exec_lo, s36
	s_mov_b32 s26, 0
	s_cbranch_vccnz .LBB1_27
; %bb.23:                               ;   in Loop: Header=BB1_9 Depth=1
	v_dual_mov_b32 v7, 0 :: v_dual_mov_b32 v8, v13
	s_mov_b32 s40, 0
	s_mov_b64 s[26:27], s[22:23]
	s_mov_b64 s[28:29], s[0:1]
.LBB1_24:                               ;   Parent Loop BB1_9 Depth=1
                                        ; =>  This Inner Loop Header: Depth=2
	s_clause 0x1
	s_load_b256 s[44:51], s[26:27], 0x4
	s_load_b128 s[52:55], s[26:27], 0x24
	s_load_b128 s[56:59], s[28:29], 0x0
	s_add_u32 s26, s26, 48
	s_addc_u32 s27, s27, 0
	s_add_i32 s40, s40, 4
	s_add_u32 s28, s28, 16
	s_addc_u32 s29, s29, 0
	s_cmp_lg_u32 s37, s40
	s_waitcnt lgkmcnt(0)
	v_mul_hi_u32 v9, s45, v8
	s_delay_alu instid0(VALU_DEP_1) | instskip(NEXT) | instid1(VALU_DEP_1)
	v_add_nc_u32_e32 v9, v8, v9
	v_lshrrev_b32_e32 v9, s46, v9
	s_delay_alu instid0(VALU_DEP_1) | instskip(SKIP_1) | instid1(VALU_DEP_2)
	v_mul_hi_u32 v10, s48, v9
	v_mul_lo_u32 v41, v9, s44
	v_add_nc_u32_e32 v10, v9, v10
	s_delay_alu instid0(VALU_DEP_2) | instskip(NEXT) | instid1(VALU_DEP_2)
	v_sub_nc_u32_e32 v41, v8, v41
	v_lshrrev_b32_e32 v10, s49, v10
	s_delay_alu instid0(VALU_DEP_2) | instskip(NEXT) | instid1(VALU_DEP_2)
	v_mul_lo_u32 v41, v41, s56
	v_mul_hi_u32 v16, s51, v10
	v_mul_lo_u32 v42, v10, s47
	s_delay_alu instid0(VALU_DEP_2) | instskip(NEXT) | instid1(VALU_DEP_2)
	v_add_nc_u32_e32 v16, v10, v16
	v_sub_nc_u32_e32 v9, v9, v42
	s_delay_alu instid0(VALU_DEP_2) | instskip(NEXT) | instid1(VALU_DEP_2)
	v_lshrrev_b32_e32 v16, s52, v16
	v_mul_lo_u32 v9, v9, s57
	s_delay_alu instid0(VALU_DEP_2) | instskip(NEXT) | instid1(VALU_DEP_2)
	v_mul_hi_u32 v40, s54, v16
	v_add3_u32 v7, v41, v7, v9
	s_delay_alu instid0(VALU_DEP_2) | instskip(NEXT) | instid1(VALU_DEP_1)
	v_add_nc_u32_e32 v40, v16, v40
	v_lshrrev_b32_e32 v8, s55, v40
	v_mul_lo_u32 v40, v16, s50
	s_delay_alu instid0(VALU_DEP_2) | instskip(NEXT) | instid1(VALU_DEP_2)
	v_mul_lo_u32 v43, v8, s53
	v_sub_nc_u32_e32 v10, v10, v40
	s_delay_alu instid0(VALU_DEP_2) | instskip(NEXT) | instid1(VALU_DEP_2)
	v_sub_nc_u32_e32 v16, v16, v43
	v_mul_lo_u32 v10, v10, s58
	s_delay_alu instid0(VALU_DEP_2) | instskip(NEXT) | instid1(VALU_DEP_1)
	v_mul_lo_u32 v16, v16, s59
	v_add3_u32 v7, v10, v7, v16
	s_cbranch_scc1 .LBB1_24
; %bb.25:                               ;   in Loop: Header=BB1_9 Depth=1
	s_mov_b32 s26, s37
	s_and_not1_b32 vcc_lo, exec_lo, s38
	s_cbranch_vccz .LBB1_28
	s_branch .LBB1_30
.LBB1_26:                               ;   in Loop: Header=BB1_9 Depth=1
                                        ; implicit-def: $vgpr7
	s_branch .LBB1_31
.LBB1_27:                               ;   in Loop: Header=BB1_9 Depth=1
	v_mov_b32_e32 v8, v13
	s_and_not1_b32 vcc_lo, exec_lo, s38
	s_cbranch_vccnz .LBB1_30
.LBB1_28:                               ;   in Loop: Header=BB1_9 Depth=1
	s_lshl_b32 s27, s26, 2
	s_mul_i32 s28, s26, 12
	s_add_u32 s26, s0, s27
	s_addc_u32 s27, s1, 0
	s_add_u32 s28, s22, s28
	s_addc_u32 s29, s23, 0
	s_mov_b32 s40, s35
	.p2align	6
.LBB1_29:                               ;   Parent Loop BB1_9 Depth=1
                                        ; =>  This Inner Loop Header: Depth=2
	s_clause 0x1
	s_load_b64 s[42:43], s[28:29], 0x4
	s_load_b32 s41, s[28:29], 0xc
	s_add_u32 s28, s28, 12
	s_addc_u32 s29, s29, 0
	s_waitcnt lgkmcnt(0)
	v_mul_hi_u32 v9, s43, v8
	s_load_b32 s43, s[26:27], 0x0
	s_add_u32 s26, s26, 4
	s_addc_u32 s27, s27, 0
	s_add_i32 s40, s40, -1
	s_delay_alu instid0(SALU_CYCLE_1) | instskip(NEXT) | instid1(VALU_DEP_1)
	s_cmp_lg_u32 s40, 0
	v_add_nc_u32_e32 v9, v8, v9
	s_delay_alu instid0(VALU_DEP_1) | instskip(NEXT) | instid1(VALU_DEP_1)
	v_lshrrev_b32_e32 v16, s41, v9
	v_mul_lo_u32 v9, v16, s42
	s_delay_alu instid0(VALU_DEP_1) | instskip(SKIP_1) | instid1(VALU_DEP_1)
	v_sub_nc_u32_e32 v8, v8, v9
	s_waitcnt lgkmcnt(0)
	v_mad_u64_u32 v[9:10], null, v8, s43, v[7:8]
	s_delay_alu instid0(VALU_DEP_1)
	v_dual_mov_b32 v8, v16 :: v_dual_mov_b32 v7, v9
	s_cbranch_scc1 .LBB1_29
.LBB1_30:                               ;   in Loop: Header=BB1_9 Depth=1
	s_cbranch_execnz .LBB1_33
.LBB1_31:                               ;   in Loop: Header=BB1_9 Depth=1
	v_mul_hi_u32 v7, v13, s6
	s_and_not1_b32 vcc_lo, exec_lo, s4
	s_delay_alu instid0(VALU_DEP_1) | instskip(NEXT) | instid1(VALU_DEP_1)
	v_add_nc_u32_e32 v7, v7, v13
	v_lshrrev_b32_e32 v8, s7, v7
	s_delay_alu instid0(VALU_DEP_1) | instskip(NEXT) | instid1(VALU_DEP_1)
	v_mul_lo_u32 v7, v8, s5
	v_sub_nc_u32_e32 v7, v13, v7
	s_delay_alu instid0(VALU_DEP_1)
	v_mul_lo_u32 v7, v7, s24
	s_cbranch_vccnz .LBB1_33
; %bb.32:                               ;   in Loop: Header=BB1_9 Depth=1
	v_mul_hi_u32 v9, s9, v8
	s_delay_alu instid0(VALU_DEP_1) | instskip(NEXT) | instid1(VALU_DEP_1)
	v_add_nc_u32_e32 v9, v8, v9
	v_lshrrev_b32_e32 v9, s10, v9
	s_delay_alu instid0(VALU_DEP_1) | instskip(NEXT) | instid1(VALU_DEP_1)
	v_mul_lo_u32 v9, v9, s8
	v_sub_nc_u32_e32 v10, v8, v9
	s_delay_alu instid0(VALU_DEP_1) | instskip(NEXT) | instid1(VALU_DEP_1)
	v_mad_u64_u32 v[8:9], null, v10, s25, v[7:8]
	v_mov_b32_e32 v7, v8
.LBB1_33:                               ;   in Loop: Header=BB1_9 Depth=1
	v_lshrrev_b32_e32 v1, 11, v1
	s_delay_alu instid0(VALU_DEP_1) | instskip(SKIP_1) | instid1(VALU_DEP_2)
	v_cvt_f64_u32_e32 v[8:9], v1
	v_cvt_f64_u32_e32 v[0:1], v0
	v_ldexp_f64 v[8:9], v[8:9], 32
	s_delay_alu instid0(VALU_DEP_1) | instskip(NEXT) | instid1(VALU_DEP_1)
	v_add_f64 v[0:1], v[8:9], v[0:1]
	v_fma_f64 v[0:1], 0x3ca00000, v[0:1], 0x3ca00000
	s_delay_alu instid0(VALU_DEP_1) | instskip(NEXT) | instid1(VALU_DEP_1)
	v_fma_f64 v[0:1], v[0:1], s[14:15], s[16:17]
	v_cmp_eq_f64_e32 vcc_lo, s[18:19], v[0:1]
	v_cndmask_b32_e64 v1, v1, s17, vcc_lo
	v_cndmask_b32_e64 v0, v0, s16, vcc_lo
	global_store_b64 v7, v[0:1], s[12:13]
.LBB1_34:                               ;   in Loop: Header=BB1_9 Depth=1
	s_or_b32 exec_lo, exec_lo, s39
	v_add_co_u32 v0, vcc_lo, v13, s30
	v_add_co_ci_u32_e32 v1, vcc_lo, 0, v14, vcc_lo
	s_mov_b32 s39, exec_lo
	s_delay_alu instid0(VALU_DEP_1)
	v_cmpx_gt_i64_e64 s[20:21], v[0:1]
	s_cbranch_execz .LBB1_8
; %bb.35:                               ;   in Loop: Header=BB1_9 Depth=1
	s_and_not1_b32 vcc_lo, exec_lo, s11
	s_cbranch_vccnz .LBB1_41
; %bb.36:                               ;   in Loop: Header=BB1_9 Depth=1
	v_mov_b32_e32 v1, 0
	s_and_not1_b32 vcc_lo, exec_lo, s34
	s_cbranch_vccnz .LBB1_45
; %bb.37:                               ;   in Loop: Header=BB1_9 Depth=1
	s_and_not1_b32 vcc_lo, exec_lo, s36
	s_mov_b32 s26, 0
	s_cbranch_vccnz .LBB1_42
; %bb.38:                               ;   in Loop: Header=BB1_9 Depth=1
	v_mov_b32_e32 v1, 0
	v_mov_b32_e32 v7, v0
	s_mov_b32 s40, 0
	s_mov_b64 s[26:27], s[22:23]
	s_mov_b64 s[28:29], s[0:1]
.LBB1_39:                               ;   Parent Loop BB1_9 Depth=1
                                        ; =>  This Inner Loop Header: Depth=2
	s_clause 0x1
	s_load_b256 s[44:51], s[26:27], 0x4
	s_load_b128 s[52:55], s[26:27], 0x24
	s_load_b128 s[56:59], s[28:29], 0x0
	s_add_u32 s26, s26, 48
	s_addc_u32 s27, s27, 0
	s_add_i32 s40, s40, 4
	s_add_u32 s28, s28, 16
	s_addc_u32 s29, s29, 0
	s_cmp_eq_u32 s37, s40
	s_waitcnt lgkmcnt(0)
	v_mul_hi_u32 v8, s45, v7
	s_delay_alu instid0(VALU_DEP_1) | instskip(NEXT) | instid1(VALU_DEP_1)
	v_add_nc_u32_e32 v8, v7, v8
	v_lshrrev_b32_e32 v8, s46, v8
	s_delay_alu instid0(VALU_DEP_1) | instskip(SKIP_1) | instid1(VALU_DEP_2)
	v_mul_hi_u32 v9, s48, v8
	v_mul_lo_u32 v40, v8, s44
	v_add_nc_u32_e32 v9, v8, v9
	s_delay_alu instid0(VALU_DEP_2) | instskip(NEXT) | instid1(VALU_DEP_2)
	v_sub_nc_u32_e32 v40, v7, v40
	v_lshrrev_b32_e32 v9, s49, v9
	s_delay_alu instid0(VALU_DEP_2) | instskip(NEXT) | instid1(VALU_DEP_2)
	v_mul_lo_u32 v40, v40, s56
	v_mul_hi_u32 v10, s51, v9
	v_mul_lo_u32 v41, v9, s47
	s_delay_alu instid0(VALU_DEP_2) | instskip(NEXT) | instid1(VALU_DEP_2)
	v_add_nc_u32_e32 v10, v9, v10
	v_sub_nc_u32_e32 v8, v8, v41
	s_delay_alu instid0(VALU_DEP_2) | instskip(NEXT) | instid1(VALU_DEP_2)
	v_lshrrev_b32_e32 v10, s52, v10
	v_mul_lo_u32 v8, v8, s57
	s_delay_alu instid0(VALU_DEP_2) | instskip(NEXT) | instid1(VALU_DEP_2)
	v_mul_hi_u32 v16, s54, v10
	v_add3_u32 v1, v40, v1, v8
	s_delay_alu instid0(VALU_DEP_2) | instskip(NEXT) | instid1(VALU_DEP_1)
	v_add_nc_u32_e32 v16, v10, v16
	v_lshrrev_b32_e32 v7, s55, v16
	v_mul_lo_u32 v16, v10, s50
	s_delay_alu instid0(VALU_DEP_2) | instskip(NEXT) | instid1(VALU_DEP_2)
	v_mul_lo_u32 v42, v7, s53
	v_sub_nc_u32_e32 v9, v9, v16
	s_delay_alu instid0(VALU_DEP_2) | instskip(NEXT) | instid1(VALU_DEP_2)
	v_sub_nc_u32_e32 v10, v10, v42
	v_mul_lo_u32 v9, v9, s58
	s_delay_alu instid0(VALU_DEP_2) | instskip(NEXT) | instid1(VALU_DEP_1)
	v_mul_lo_u32 v10, v10, s59
	v_add3_u32 v1, v9, v1, v10
	s_cbranch_scc0 .LBB1_39
; %bb.40:                               ;   in Loop: Header=BB1_9 Depth=1
	s_mov_b32 s26, s37
	s_and_not1_b32 vcc_lo, exec_lo, s38
	s_cbranch_vccz .LBB1_43
	s_branch .LBB1_45
.LBB1_41:                               ;   in Loop: Header=BB1_9 Depth=1
                                        ; implicit-def: $vgpr1
	s_branch .LBB1_46
.LBB1_42:                               ;   in Loop: Header=BB1_9 Depth=1
	v_mov_b32_e32 v7, v0
	s_and_not1_b32 vcc_lo, exec_lo, s38
	s_cbranch_vccnz .LBB1_45
.LBB1_43:                               ;   in Loop: Header=BB1_9 Depth=1
	s_lshl_b32 s27, s26, 2
	s_mul_i32 s28, s26, 12
	s_add_u32 s26, s0, s27
	s_addc_u32 s27, s1, 0
	s_add_u32 s28, s22, s28
	s_addc_u32 s29, s23, 0
	s_mov_b32 s40, s35
	.p2align	6
.LBB1_44:                               ;   Parent Loop BB1_9 Depth=1
                                        ; =>  This Inner Loop Header: Depth=2
	s_clause 0x1
	s_load_b64 s[42:43], s[28:29], 0x4
	s_load_b32 s41, s[28:29], 0xc
	s_add_u32 s28, s28, 12
	s_addc_u32 s29, s29, 0
	s_waitcnt lgkmcnt(0)
	v_mul_hi_u32 v8, s43, v7
	s_load_b32 s43, s[26:27], 0x0
	s_add_u32 s26, s26, 4
	s_addc_u32 s27, s27, 0
	s_add_i32 s40, s40, -1
	s_delay_alu instid0(SALU_CYCLE_1) | instskip(NEXT) | instid1(VALU_DEP_1)
	s_cmp_lg_u32 s40, 0
	v_add_nc_u32_e32 v8, v7, v8
	s_delay_alu instid0(VALU_DEP_1) | instskip(NEXT) | instid1(VALU_DEP_1)
	v_lshrrev_b32_e32 v10, s41, v8
	v_mul_lo_u32 v8, v10, s42
	s_delay_alu instid0(VALU_DEP_1) | instskip(SKIP_1) | instid1(VALU_DEP_1)
	v_sub_nc_u32_e32 v7, v7, v8
	s_waitcnt lgkmcnt(0)
	v_mad_u64_u32 v[8:9], null, v7, s43, v[1:2]
	v_mov_b32_e32 v7, v10
	s_delay_alu instid0(VALU_DEP_2)
	v_mov_b32_e32 v1, v8
	s_cbranch_scc1 .LBB1_44
.LBB1_45:                               ;   in Loop: Header=BB1_9 Depth=1
	s_cbranch_execnz .LBB1_7
.LBB1_46:                               ;   in Loop: Header=BB1_9 Depth=1
	v_mul_hi_u32 v1, v0, s6
	s_and_not1_b32 vcc_lo, exec_lo, s4
	s_delay_alu instid0(VALU_DEP_1) | instskip(NEXT) | instid1(VALU_DEP_1)
	v_add_nc_u32_e32 v1, v1, v0
	v_lshrrev_b32_e32 v7, s7, v1
	s_delay_alu instid0(VALU_DEP_1) | instskip(NEXT) | instid1(VALU_DEP_1)
	v_mul_lo_u32 v1, v7, s5
	v_sub_nc_u32_e32 v0, v0, v1
	s_delay_alu instid0(VALU_DEP_1)
	v_mul_lo_u32 v1, v0, s24
	s_cbranch_vccnz .LBB1_7
; %bb.47:                               ;   in Loop: Header=BB1_9 Depth=1
	v_mul_hi_u32 v0, s9, v7
	s_delay_alu instid0(VALU_DEP_1) | instskip(NEXT) | instid1(VALU_DEP_1)
	v_add_nc_u32_e32 v0, v7, v0
	v_lshrrev_b32_e32 v0, s10, v0
	s_delay_alu instid0(VALU_DEP_1) | instskip(NEXT) | instid1(VALU_DEP_1)
	v_mul_lo_u32 v0, v0, s8
	v_sub_nc_u32_e32 v0, v7, v0
	s_delay_alu instid0(VALU_DEP_1) | instskip(NEXT) | instid1(VALU_DEP_1)
	v_mad_u64_u32 v[7:8], null, v0, s25, v[1:2]
	v_mov_b32_e32 v1, v7
	s_branch .LBB1_7
.LBB1_48:
	s_endpgm
.LBB1_49:
                                        ; implicit-def: $sgpr2_sgpr3
	s_branch .LBB1_4
	.section	.rodata,"a",@progbits
	.p2align	6, 0x0
	.amdhsa_kernel _ZN2at6native12_GLOBAL__N_143distribution_elementwise_grid_stride_kernelIdLi2EZNS0_9templates4cuda21uniform_and_transformIddPNS_17CUDAGeneratorImplEZZZNS4_14uniform_kernelIS7_EEvRNS_18TensorIteratorBaseEddT_ENKUlvE_clEvENKUlvE_clEvEUldE_EEvSA_T1_T2_EUlP25hiprandStatePhilox4_32_10E_ZNS1_27distribution_nullary_kernelIdd15HIP_vector_typeIdLj2EES7_SJ_SE_EEvSA_SG_RKT3_T4_EUlidE0_EEvlNS_15PhiloxCudaStateESF_SG_
		.amdhsa_group_segment_fixed_size 0
		.amdhsa_private_segment_fixed_size 0
		.amdhsa_kernarg_size 600
		.amdhsa_user_sgpr_count 15
		.amdhsa_user_sgpr_dispatch_ptr 0
		.amdhsa_user_sgpr_queue_ptr 0
		.amdhsa_user_sgpr_kernarg_segment_ptr 1
		.amdhsa_user_sgpr_dispatch_id 0
		.amdhsa_user_sgpr_private_segment_size 0
		.amdhsa_wavefront_size32 1
		.amdhsa_uses_dynamic_stack 0
		.amdhsa_enable_private_segment 0
		.amdhsa_system_sgpr_workgroup_id_x 1
		.amdhsa_system_sgpr_workgroup_id_y 0
		.amdhsa_system_sgpr_workgroup_id_z 0
		.amdhsa_system_sgpr_workgroup_info 0
		.amdhsa_system_vgpr_workitem_id 0
		.amdhsa_next_free_vgpr 44
		.amdhsa_next_free_sgpr 60
		.amdhsa_reserve_vcc 1
		.amdhsa_float_round_mode_32 0
		.amdhsa_float_round_mode_16_64 0
		.amdhsa_float_denorm_mode_32 3
		.amdhsa_float_denorm_mode_16_64 3
		.amdhsa_dx10_clamp 1
		.amdhsa_ieee_mode 1
		.amdhsa_fp16_overflow 0
		.amdhsa_workgroup_processor_mode 1
		.amdhsa_memory_ordered 1
		.amdhsa_forward_progress 0
		.amdhsa_shared_vgpr_count 0
		.amdhsa_exception_fp_ieee_invalid_op 0
		.amdhsa_exception_fp_denorm_src 0
		.amdhsa_exception_fp_ieee_div_zero 0
		.amdhsa_exception_fp_ieee_overflow 0
		.amdhsa_exception_fp_ieee_underflow 0
		.amdhsa_exception_fp_ieee_inexact 0
		.amdhsa_exception_int_div_zero 0
	.end_amdhsa_kernel
	.section	.text._ZN2at6native12_GLOBAL__N_143distribution_elementwise_grid_stride_kernelIdLi2EZNS0_9templates4cuda21uniform_and_transformIddPNS_17CUDAGeneratorImplEZZZNS4_14uniform_kernelIS7_EEvRNS_18TensorIteratorBaseEddT_ENKUlvE_clEvENKUlvE_clEvEUldE_EEvSA_T1_T2_EUlP25hiprandStatePhilox4_32_10E_ZNS1_27distribution_nullary_kernelIdd15HIP_vector_typeIdLj2EES7_SJ_SE_EEvSA_SG_RKT3_T4_EUlidE0_EEvlNS_15PhiloxCudaStateESF_SG_,"axG",@progbits,_ZN2at6native12_GLOBAL__N_143distribution_elementwise_grid_stride_kernelIdLi2EZNS0_9templates4cuda21uniform_and_transformIddPNS_17CUDAGeneratorImplEZZZNS4_14uniform_kernelIS7_EEvRNS_18TensorIteratorBaseEddT_ENKUlvE_clEvENKUlvE_clEvEUldE_EEvSA_T1_T2_EUlP25hiprandStatePhilox4_32_10E_ZNS1_27distribution_nullary_kernelIdd15HIP_vector_typeIdLj2EES7_SJ_SE_EEvSA_SG_RKT3_T4_EUlidE0_EEvlNS_15PhiloxCudaStateESF_SG_,comdat
.Lfunc_end1:
	.size	_ZN2at6native12_GLOBAL__N_143distribution_elementwise_grid_stride_kernelIdLi2EZNS0_9templates4cuda21uniform_and_transformIddPNS_17CUDAGeneratorImplEZZZNS4_14uniform_kernelIS7_EEvRNS_18TensorIteratorBaseEddT_ENKUlvE_clEvENKUlvE_clEvEUldE_EEvSA_T1_T2_EUlP25hiprandStatePhilox4_32_10E_ZNS1_27distribution_nullary_kernelIdd15HIP_vector_typeIdLj2EES7_SJ_SE_EEvSA_SG_RKT3_T4_EUlidE0_EEvlNS_15PhiloxCudaStateESF_SG_, .Lfunc_end1-_ZN2at6native12_GLOBAL__N_143distribution_elementwise_grid_stride_kernelIdLi2EZNS0_9templates4cuda21uniform_and_transformIddPNS_17CUDAGeneratorImplEZZZNS4_14uniform_kernelIS7_EEvRNS_18TensorIteratorBaseEddT_ENKUlvE_clEvENKUlvE_clEvEUldE_EEvSA_T1_T2_EUlP25hiprandStatePhilox4_32_10E_ZNS1_27distribution_nullary_kernelIdd15HIP_vector_typeIdLj2EES7_SJ_SE_EEvSA_SG_RKT3_T4_EUlidE0_EEvlNS_15PhiloxCudaStateESF_SG_
                                        ; -- End function
	.section	.AMDGPU.csdata,"",@progbits
; Kernel info:
; codeLenInByte = 3972
; NumSgprs: 62
; NumVgprs: 44
; ScratchSize: 0
; MemoryBound: 0
; FloatMode: 240
; IeeeMode: 1
; LDSByteSize: 0 bytes/workgroup (compile time only)
; SGPRBlocks: 7
; VGPRBlocks: 5
; NumSGPRsForWavesPerEU: 62
; NumVGPRsForWavesPerEU: 44
; Occupancy: 16
; WaveLimiterHint : 1
; COMPUTE_PGM_RSRC2:SCRATCH_EN: 0
; COMPUTE_PGM_RSRC2:USER_SGPR: 15
; COMPUTE_PGM_RSRC2:TRAP_HANDLER: 0
; COMPUTE_PGM_RSRC2:TGID_X_EN: 1
; COMPUTE_PGM_RSRC2:TGID_Y_EN: 0
; COMPUTE_PGM_RSRC2:TGID_Z_EN: 0
; COMPUTE_PGM_RSRC2:TIDIG_COMP_CNT: 0
	.section	.text._ZN2at6native12_GLOBAL__N_143distribution_elementwise_grid_stride_kernelIdLi2EZNS0_9templates4cuda21uniform_and_transformIddPNS_17CUDAGeneratorImplEZZZNS4_14uniform_kernelIS7_EEvRNS_18TensorIteratorBaseEddT_ENKUlvE_clEvENKUlvE_clEvEUldE_EEvSA_T1_T2_EUlP25hiprandStatePhilox4_32_10E0_ZNS1_27distribution_nullary_kernelIdd15HIP_vector_typeIfLj4EES7_SJ_SE_EEvSA_SG_RKT3_T4_EUlidE_EEvlNS_15PhiloxCudaStateESF_SG_,"axG",@progbits,_ZN2at6native12_GLOBAL__N_143distribution_elementwise_grid_stride_kernelIdLi2EZNS0_9templates4cuda21uniform_and_transformIddPNS_17CUDAGeneratorImplEZZZNS4_14uniform_kernelIS7_EEvRNS_18TensorIteratorBaseEddT_ENKUlvE_clEvENKUlvE_clEvEUldE_EEvSA_T1_T2_EUlP25hiprandStatePhilox4_32_10E0_ZNS1_27distribution_nullary_kernelIdd15HIP_vector_typeIfLj4EES7_SJ_SE_EEvSA_SG_RKT3_T4_EUlidE_EEvlNS_15PhiloxCudaStateESF_SG_,comdat
	.globl	_ZN2at6native12_GLOBAL__N_143distribution_elementwise_grid_stride_kernelIdLi2EZNS0_9templates4cuda21uniform_and_transformIddPNS_17CUDAGeneratorImplEZZZNS4_14uniform_kernelIS7_EEvRNS_18TensorIteratorBaseEddT_ENKUlvE_clEvENKUlvE_clEvEUldE_EEvSA_T1_T2_EUlP25hiprandStatePhilox4_32_10E0_ZNS1_27distribution_nullary_kernelIdd15HIP_vector_typeIfLj4EES7_SJ_SE_EEvSA_SG_RKT3_T4_EUlidE_EEvlNS_15PhiloxCudaStateESF_SG_ ; -- Begin function _ZN2at6native12_GLOBAL__N_143distribution_elementwise_grid_stride_kernelIdLi2EZNS0_9templates4cuda21uniform_and_transformIddPNS_17CUDAGeneratorImplEZZZNS4_14uniform_kernelIS7_EEvRNS_18TensorIteratorBaseEddT_ENKUlvE_clEvENKUlvE_clEvEUldE_EEvSA_T1_T2_EUlP25hiprandStatePhilox4_32_10E0_ZNS1_27distribution_nullary_kernelIdd15HIP_vector_typeIfLj4EES7_SJ_SE_EEvSA_SG_RKT3_T4_EUlidE_EEvlNS_15PhiloxCudaStateESF_SG_
	.p2align	8
	.type	_ZN2at6native12_GLOBAL__N_143distribution_elementwise_grid_stride_kernelIdLi2EZNS0_9templates4cuda21uniform_and_transformIddPNS_17CUDAGeneratorImplEZZZNS4_14uniform_kernelIS7_EEvRNS_18TensorIteratorBaseEddT_ENKUlvE_clEvENKUlvE_clEvEUldE_EEvSA_T1_T2_EUlP25hiprandStatePhilox4_32_10E0_ZNS1_27distribution_nullary_kernelIdd15HIP_vector_typeIfLj4EES7_SJ_SE_EEvSA_SG_RKT3_T4_EUlidE_EEvlNS_15PhiloxCudaStateESF_SG_,@function
_ZN2at6native12_GLOBAL__N_143distribution_elementwise_grid_stride_kernelIdLi2EZNS0_9templates4cuda21uniform_and_transformIddPNS_17CUDAGeneratorImplEZZZNS4_14uniform_kernelIS7_EEvRNS_18TensorIteratorBaseEddT_ENKUlvE_clEvENKUlvE_clEvEUldE_EEvSA_T1_T2_EUlP25hiprandStatePhilox4_32_10E0_ZNS1_27distribution_nullary_kernelIdd15HIP_vector_typeIfLj4EES7_SJ_SE_EEvSA_SG_RKT3_T4_EUlidE_EEvlNS_15PhiloxCudaStateESF_SG_: ; @_ZN2at6native12_GLOBAL__N_143distribution_elementwise_grid_stride_kernelIdLi2EZNS0_9templates4cuda21uniform_and_transformIddPNS_17CUDAGeneratorImplEZZZNS4_14uniform_kernelIS7_EEvRNS_18TensorIteratorBaseEddT_ENKUlvE_clEvENKUlvE_clEvEUldE_EEvSA_T1_T2_EUlP25hiprandStatePhilox4_32_10E0_ZNS1_27distribution_nullary_kernelIdd15HIP_vector_typeIfLj4EES7_SJ_SE_EEvSA_SG_RKT3_T4_EUlidE_EEvlNS_15PhiloxCudaStateESF_SG_
; %bb.0:
	s_clause 0x2
	s_load_b64 s[8:9], s[0:1], 0x10
	s_load_b128 s[4:7], s[0:1], 0x0
	s_load_b32 s2, s[0:1], 0x20
	s_waitcnt lgkmcnt(0)
	v_dual_mov_b32 v2, s8 :: v_dual_mov_b32 v3, s9
	v_dual_mov_b32 v9, s7 :: v_dual_mov_b32 v8, s6
	s_bitcmp0_b32 s2, 0
	s_mov_b32 s2, 0
	s_cbranch_scc1 .LBB2_2
; %bb.1:
	v_dual_mov_b32 v1, s8 :: v_dual_mov_b32 v2, s9
	v_dual_mov_b32 v4, s6 :: v_dual_mov_b32 v5, s7
	s_load_b64 s[6:7], s[0:1], 0x18
	flat_load_b64 v[2:3], v[1:2]
	flat_load_b64 v[8:9], v[4:5]
	s_waitcnt vmcnt(1) lgkmcnt(0)
	v_add_co_u32 v2, vcc_lo, v2, s6
	v_add_co_ci_u32_e32 v3, vcc_lo, s7, v3, vcc_lo
.LBB2_2:
	s_clause 0x1
	s_load_b32 s3, s[0:1], 0x64
	s_load_b32 s18, s[0:1], 0x58
	s_waitcnt lgkmcnt(0)
	s_and_b32 s17, s3, 0xffff
	s_add_u32 s6, s4, -1
	s_mul_i32 s14, s18, s17
	s_addc_u32 s3, s5, -1
	s_lshl_b32 s16, s14, 1
	s_cmp_lg_u64 s[2:3], 0
	s_cbranch_scc0 .LBB2_23
; %bb.3:
	v_cvt_f32_ubyte0_e32 v1, 0
	v_cvt_f32_u32_e32 v4, s16
	s_sub_u32 s8, 0, s16
	s_subb_u32 s9, 0, 0
	s_delay_alu instid0(VALU_DEP_1) | instskip(NEXT) | instid1(VALU_DEP_1)
	v_fmamk_f32 v1, v1, 0x4f800000, v4
	v_rcp_f32_e32 v1, v1
	s_waitcnt_depctr 0xfff
	v_mul_f32_e32 v1, 0x5f7ffffc, v1
	s_delay_alu instid0(VALU_DEP_1) | instskip(NEXT) | instid1(VALU_DEP_1)
	v_mul_f32_e32 v4, 0x2f800000, v1
	v_trunc_f32_e32 v4, v4
	s_delay_alu instid0(VALU_DEP_1) | instskip(SKIP_1) | instid1(VALU_DEP_2)
	v_fmamk_f32 v1, v4, 0xcf800000, v1
	v_cvt_u32_f32_e32 v4, v4
	v_cvt_u32_f32_e32 v1, v1
	s_delay_alu instid0(VALU_DEP_2) | instskip(NEXT) | instid1(VALU_DEP_2)
	v_readfirstlane_b32 s2, v4
	v_readfirstlane_b32 s7, v1
	s_delay_alu instid0(VALU_DEP_2) | instskip(NEXT) | instid1(VALU_DEP_1)
	s_mul_i32 s10, s8, s2
	s_mul_hi_u32 s12, s8, s7
	s_mul_i32 s11, s9, s7
	s_add_i32 s10, s12, s10
	s_mul_i32 s13, s8, s7
	s_add_i32 s10, s10, s11
	s_mul_hi_u32 s12, s7, s13
	s_mul_hi_u32 s19, s2, s13
	s_mul_i32 s11, s2, s13
	s_mul_hi_u32 s13, s7, s10
	s_mul_i32 s7, s7, s10
	s_mul_hi_u32 s20, s2, s10
	s_add_u32 s7, s12, s7
	s_addc_u32 s12, 0, s13
	s_add_u32 s7, s7, s11
	s_mul_i32 s10, s2, s10
	s_addc_u32 s7, s12, s19
	s_addc_u32 s11, s20, 0
	s_add_u32 s7, s7, s10
	s_addc_u32 s10, 0, s11
	v_add_co_u32 v1, s7, v1, s7
	s_delay_alu instid0(VALU_DEP_1) | instskip(SKIP_1) | instid1(VALU_DEP_1)
	s_cmp_lg_u32 s7, 0
	s_addc_u32 s2, s2, s10
	v_readfirstlane_b32 s7, v1
	s_mul_i32 s10, s8, s2
	s_delay_alu instid0(VALU_DEP_1)
	s_mul_hi_u32 s11, s8, s7
	s_mul_i32 s9, s9, s7
	s_add_i32 s10, s11, s10
	s_mul_i32 s8, s8, s7
	s_add_i32 s10, s10, s9
	s_mul_hi_u32 s11, s2, s8
	s_mul_i32 s12, s2, s8
	s_mul_hi_u32 s8, s7, s8
	s_mul_hi_u32 s13, s7, s10
	s_mul_i32 s7, s7, s10
	s_mul_hi_u32 s9, s2, s10
	s_add_u32 s7, s8, s7
	s_addc_u32 s8, 0, s13
	s_add_u32 s7, s7, s12
	s_mul_i32 s10, s2, s10
	s_addc_u32 s7, s8, s11
	s_addc_u32 s8, s9, 0
	s_add_u32 s7, s7, s10
	s_addc_u32 s8, 0, s8
	v_add_co_u32 v1, s7, v1, s7
	s_delay_alu instid0(VALU_DEP_1) | instskip(SKIP_2) | instid1(VALU_DEP_1)
	s_cmp_lg_u32 s7, 0
	s_addc_u32 s7, s2, s8
	s_ashr_i32 s8, s3, 31
	v_readfirstlane_b32 s10, v1
	s_add_u32 s2, s6, s8
	s_mov_b32 s9, s8
	s_addc_u32 s3, s3, s8
	s_delay_alu instid0(SALU_CYCLE_1) | instskip(NEXT) | instid1(SALU_CYCLE_1)
	s_xor_b64 s[2:3], s[2:3], s[8:9]
	s_mul_i32 s12, s2, s7
	s_mul_hi_u32 s13, s2, s10
	s_mul_hi_u32 s11, s2, s7
	;; [unrolled: 1-line block ×3, first 2 shown]
	s_mul_i32 s10, s3, s10
	s_add_u32 s12, s13, s12
	s_addc_u32 s11, 0, s11
	s_mul_hi_u32 s19, s3, s7
	s_add_u32 s10, s12, s10
	s_mul_i32 s7, s3, s7
	s_addc_u32 s10, s11, s20
	s_addc_u32 s11, s19, 0
	s_add_u32 s7, s10, s7
	s_addc_u32 s10, 0, s11
	s_mul_i32 s12, s16, s7
	s_add_u32 s11, s7, 1
	v_sub_co_u32 v1, s2, s2, s12
	s_mul_hi_u32 s12, s16, s7
	s_addc_u32 s13, s10, 0
	s_mul_i32 s19, s16, s10
	s_delay_alu instid0(VALU_DEP_1)
	v_sub_co_u32 v4, s20, v1, s16
	s_add_u32 s21, s7, 2
	s_addc_u32 s22, s10, 0
	s_add_i32 s12, s12, s19
	s_cmp_lg_u32 s2, 0
	v_readfirstlane_b32 s2, v4
	s_subb_u32 s3, s3, s12
	s_cmp_lg_u32 s20, 0
	s_subb_u32 s12, s3, 0
	s_delay_alu instid0(VALU_DEP_1) | instskip(SKIP_4) | instid1(SALU_CYCLE_1)
	s_cmp_ge_u32 s2, s16
	s_cselect_b32 s2, -1, 0
	s_cmp_eq_u32 s12, 0
	v_readfirstlane_b32 s12, v1
	s_cselect_b32 s2, s2, -1
	s_cmp_lg_u32 s2, 0
	s_cselect_b32 s2, s21, s11
	s_cselect_b32 s11, s22, s13
	s_cmp_ge_u32 s12, s16
	s_cselect_b32 s12, -1, 0
	s_cmp_eq_u32 s3, 0
	s_cselect_b32 s3, s12, -1
	s_delay_alu instid0(SALU_CYCLE_1) | instskip(SKIP_2) | instid1(SALU_CYCLE_1)
	s_cmp_lg_u32 s3, 0
	s_cselect_b32 s3, s11, s10
	s_cselect_b32 s2, s2, s7
	s_xor_b64 s[2:3], s[2:3], s[8:9]
	s_delay_alu instid0(SALU_CYCLE_1)
	s_sub_u32 s2, s2, s8
	s_subb_u32 s3, s3, s8
	s_cbranch_execnz .LBB2_5
.LBB2_4:
	v_cvt_f32_u32_e32 v1, s16
	s_sub_i32 s3, 0, s16
	s_delay_alu instid0(VALU_DEP_1) | instskip(SKIP_2) | instid1(VALU_DEP_1)
	v_rcp_iflag_f32_e32 v1, v1
	s_waitcnt_depctr 0xfff
	v_mul_f32_e32 v1, 0x4f7ffffe, v1
	v_cvt_u32_f32_e32 v1, v1
	s_delay_alu instid0(VALU_DEP_1) | instskip(NEXT) | instid1(VALU_DEP_1)
	v_readfirstlane_b32 s2, v1
	s_mul_i32 s3, s3, s2
	s_delay_alu instid0(SALU_CYCLE_1) | instskip(NEXT) | instid1(SALU_CYCLE_1)
	s_mul_hi_u32 s3, s2, s3
	s_add_i32 s2, s2, s3
	s_delay_alu instid0(SALU_CYCLE_1) | instskip(NEXT) | instid1(SALU_CYCLE_1)
	s_mul_hi_u32 s2, s6, s2
	s_mul_i32 s3, s2, s16
	s_delay_alu instid0(SALU_CYCLE_1)
	s_sub_i32 s3, s6, s3
	s_add_i32 s6, s2, 1
	s_sub_i32 s7, s3, s16
	s_cmp_ge_u32 s3, s16
	s_cselect_b32 s2, s6, s2
	s_cselect_b32 s3, s7, s3
	s_add_i32 s6, s2, 1
	s_cmp_ge_u32 s3, s16
	s_mov_b32 s3, 0
	s_cselect_b32 s2, s6, s2
.LBB2_5:
	v_mov_b32_e32 v1, 0
	s_add_u32 s2, s2, 1
	s_addc_u32 s3, s3, 0
	s_mul_hi_u32 s6, s14, s2
	s_mul_i32 s3, s14, s3
	v_mad_u64_u32 v[10:11], null, s17, s15, v[0:1]
	s_mul_hi_u32 s7, s18, s17
	s_add_i32 s3, s6, s3
	s_mul_i32 s7, s7, s2
	s_mul_i32 s2, s14, s2
	s_add_i32 s3, s3, s7
	s_mov_b32 s6, exec_lo
	s_lshl_b64 s[2:3], s[2:3], 1
	s_delay_alu instid0(SALU_CYCLE_1)
	v_cmpx_gt_i64_e64 s[2:3], v[10:11]
	s_cbranch_execz .LBB2_22
; %bb.6:
	v_alignbit_b32 v14, v3, v2, 2
	v_mad_u64_u32 v[6:7], null, 0xcd9e8d57, v10, 0
	v_lshrrev_b32_e32 v15, 2, v3
	s_waitcnt vmcnt(0)
	v_mov_b32_e32 v33, v9
	v_mad_u64_u32 v[4:5], null, 0xd2511f53, v14, 0
	v_add_co_u32 v17, null, 0x9e3779b9, v8
	v_xor3_b32 v3, v8, v7, v15
	s_delay_alu instid0(VALU_DEP_4) | instskip(SKIP_2) | instid1(VALU_DEP_4)
	v_add_co_u32 v16, null, 0xbb67ae85, v33
	v_add_co_u32 v18, null, 0x3c6ef372, v8
	v_xor_b32_e32 v1, v5, v9
	v_mad_u64_u32 v[12:13], null, 0xd2511f53, v3, 0
	v_add_co_u32 v19, null, 0x76cf5d0a, v33
	s_delay_alu instid0(VALU_DEP_3) | instskip(SKIP_2) | instid1(VALU_DEP_3)
	v_xor_b32_e32 v1, v1, v11
	v_add_co_u32 v22, null, 0x78dde6e4, v8
	v_add_co_u32 v23, null, 0xed9eba14, v33
	v_mad_u64_u32 v[20:21], null, 0xcd9e8d57, v1, 0
	v_xor3_b32 v1, v16, v13, v4
	v_add_co_u32 v24, null, 0xa9066899, v33
	v_add_co_u32 v25, null, 0x1715609d, v8
	s_delay_alu instid0(VALU_DEP_3) | instskip(SKIP_3) | instid1(VALU_DEP_3)
	v_mad_u64_u32 v[3:4], null, 0xcd9e8d57, v1, 0
	v_xor3_b32 v7, v17, v21, v6
	v_add_co_u32 v21, null, 0xdaa66d2b, v8
	v_add_co_u32 v28, null, 0x1fd5c5a3, v33
	v_mad_u64_u32 v[5:6], null, 0xd2511f53, v7, 0
	v_xor3_b32 v1, v18, v4, v20
	v_add_co_u32 v20, null, 0x32370b8f, v33
	v_add_co_u32 v29, null, 0x5384540f, v8
	s_clause 0x1
	s_load_b64 s[6:7], s[0:1], 0x50
	s_load_b128 s[8:11], s[0:1], 0x40
	s_delay_alu instid0(VALU_DEP_4)
	v_xor3_b32 v4, v19, v6, v12
	v_mad_u64_u32 v[6:7], null, 0xd2511f53, v1, 0
	s_clause 0x1
	s_load_b64 s[12:13], s[0:1], 0x30
	s_load_b32 s0, s[0:1], 0x38
	v_add_co_u32 v32, null, 0xf1bbcdc8, v8
	v_mad_u64_u32 v[12:13], null, 0xcd9e8d57, v4, 0
	v_dual_mov_b32 v35, v10 :: v_dual_add_nc_u32 v34, 0x96a522ad, v9
	s_delay_alu instid0(VALU_DEP_4) | instskip(SKIP_1) | instid1(VALU_DEP_4)
	v_xor3_b32 v1, v20, v7, v5
	v_mov_b32_e32 v38, v11
	v_xor3_b32 v5, v21, v13, v3
	s_delay_alu instid0(VALU_DEP_3) | instskip(NEXT) | instid1(VALU_DEP_2)
	v_mad_u64_u32 v[3:4], null, 0xcd9e8d57, v1, 0
	v_mad_u64_u32 v[26:27], null, 0xd2511f53, v5, 0
	s_delay_alu instid0(VALU_DEP_2) | instskip(SKIP_2) | instid1(VALU_DEP_2)
	v_xor3_b32 v1, v22, v4, v12
	s_waitcnt lgkmcnt(0)
	s_mul_i32 s1, s18, s0
	v_xor3_b32 v12, v23, v27, v6
	s_delay_alu instid0(VALU_DEP_2) | instskip(SKIP_1) | instid1(VALU_DEP_3)
	v_mad_u64_u32 v[4:5], null, 0xd2511f53, v1, 0
	v_add_co_u32 v27, null, 0x646e171e, v33
	v_mad_u64_u32 v[6:7], null, 0xcd9e8d57, v12, 0
	s_delay_alu instid0(VALU_DEP_3) | instskip(SKIP_1) | instid1(VALU_DEP_3)
	v_xor3_b32 v1, v24, v5, v26
	v_add_co_u32 v26, null, 0xb54cda56, v8
	v_xor3_b32 v3, v25, v7, v3
	s_delay_alu instid0(VALU_DEP_3) | instskip(NEXT) | instid1(VALU_DEP_2)
	v_mad_u64_u32 v[12:13], null, 0xcd9e8d57, v1, 0
	v_mad_u64_u32 v[30:31], null, 0xd2511f53, v3, 0
	s_delay_alu instid0(VALU_DEP_2) | instskip(NEXT) | instid1(VALU_DEP_2)
	v_xor3_b32 v1, v26, v13, v6
	v_xor3_b32 v7, v27, v31, v4
	s_delay_alu instid0(VALU_DEP_2) | instskip(SKIP_1) | instid1(VALU_DEP_3)
	v_mad_u64_u32 v[3:4], null, 0xd2511f53, v1, 0
	v_add_nc_u32_e32 v31, 0x8ff34781, v8
	v_mad_u64_u32 v[5:6], null, 0xcd9e8d57, v7, 0
	s_delay_alu instid0(VALU_DEP_3) | instskip(SKIP_2) | instid1(VALU_DEP_4)
	v_xor3_b32 v1, v28, v4, v30
	v_and_b32_e32 v30, 3, v2
	v_add_co_u32 v33, null, 0xdb3d7428, v33
	v_xor3_b32 v2, v29, v6, v12
	s_delay_alu instid0(VALU_DEP_4) | instskip(SKIP_1) | instid1(VALU_DEP_3)
	v_mad_u64_u32 v[6:7], null, 0xcd9e8d57, v1, 0
	v_mad_u64_u32 v[36:37], null, s15, s17, v[0:1]
	;; [unrolled: 1-line block ×3, first 2 shown]
	s_add_i32 s15, s15, s18
	s_delay_alu instid0(VALU_DEP_3) | instskip(NEXT) | instid1(VALU_DEP_3)
	v_xor3_b32 v1, v32, v7, v5
	v_mul_lo_u32 v36, s0, v36
	s_delay_alu instid0(VALU_DEP_3) | instskip(NEXT) | instid1(VALU_DEP_3)
	v_xor3_b32 v7, v33, v13, v3
	v_mad_u64_u32 v[3:4], null, s15, s17, v[0:1]
	v_mad_u64_u32 v[4:5], null, 0xd2511f53, v1, 0
	s_delay_alu instid0(VALU_DEP_3) | instskip(NEXT) | instid1(VALU_DEP_3)
	v_mad_u64_u32 v[1:2], null, 0xcd9e8d57, v7, 0
	v_mul_lo_u32 v37, s0, v3
	s_mul_i32 s0, s1, s17
	s_delay_alu instid0(VALU_DEP_3) | instskip(SKIP_1) | instid1(VALU_DEP_3)
	v_mov_b32_e32 v3, v4
	s_mov_b32 s1, 0
	v_xor3_b32 v0, v2, v6, v31
	v_xor3_b32 v2, v5, v12, v34
	s_lshl_b32 s15, s0, 1
	s_mov_b32 s17, 0
	s_branch .LBB2_8
.LBB2_7:                                ;   in Loop: Header=BB2_8 Depth=1
	s_or_b32 exec_lo, exec_lo, s18
	v_add_co_u32 v10, vcc_lo, v10, s16
	v_add_co_ci_u32_e32 v11, vcc_lo, 0, v11, vcc_lo
	v_mov_b32_e32 v7, v12
	v_dual_mov_b32 v0, v4 :: v_dual_mov_b32 v1, v5
	s_delay_alu instid0(VALU_DEP_3) | instskip(NEXT) | instid1(VALU_DEP_3)
	v_cmp_le_i64_e32 vcc_lo, s[2:3], v[10:11]
	v_dual_mov_b32 v2, v6 :: v_dual_mov_b32 v3, v7
	s_add_i32 s17, s17, s15
	s_waitcnt_vscnt null, 0x0
	s_barrier
	s_or_b32 s1, vcc_lo, s1
	buffer_gl0_inv
	s_and_not1_b32 exec_lo, exec_lo, s1
	s_cbranch_execz .LBB2_22
.LBB2_8:                                ; =>This Inner Loop Header: Depth=1
	v_add_co_u32 v14, vcc_lo, v14, 1
	s_delay_alu instid0(VALU_DEP_1) | instskip(SKIP_2) | instid1(VALU_DEP_1)
	v_cndmask_b32_e64 v4, 0, 1, vcc_lo
	v_add_co_ci_u32_e32 v15, vcc_lo, 0, v15, vcc_lo
	s_mov_b32 s0, exec_lo
	v_cmp_eq_u32_e32 vcc_lo, 0, v15
	s_delay_alu instid0(VALU_DEP_3) | instskip(NEXT) | instid1(VALU_DEP_1)
	v_cndmask_b32_e32 v4, 0, v4, vcc_lo
	v_add_nc_u32_e32 v35, v4, v35
	s_delay_alu instid0(VALU_DEP_1) | instskip(SKIP_2) | instid1(VALU_DEP_2)
	v_cmp_eq_u32_e32 vcc_lo, 0, v35
	v_cndmask_b32_e32 v4, 0, v4, vcc_lo
	v_mad_u64_u32 v[6:7], null, 0xcd9e8d57, v35, 0
	v_add_nc_u32_e32 v38, v4, v38
	v_mad_u64_u32 v[4:5], null, 0xd2511f53, v14, 0
	s_delay_alu instid0(VALU_DEP_3) | instskip(NEXT) | instid1(VALU_DEP_2)
	v_xor3_b32 v7, v7, v8, v15
	v_xor_b32_e32 v5, v5, v9
	s_delay_alu instid0(VALU_DEP_2) | instskip(NEXT) | instid1(VALU_DEP_2)
	v_mad_u64_u32 v[39:40], null, 0xd2511f53, v7, 0
	v_xor_b32_e32 v5, v38, v5
	s_delay_alu instid0(VALU_DEP_1) | instskip(NEXT) | instid1(VALU_DEP_1)
	v_mad_u64_u32 v[12:13], null, 0xcd9e8d57, v5, 0
	v_xor3_b32 v6, v17, v13, v6
	s_delay_alu instid0(VALU_DEP_4) | instskip(NEXT) | instid1(VALU_DEP_2)
	v_xor3_b32 v13, v16, v40, v4
	v_mad_u64_u32 v[4:5], null, 0xd2511f53, v6, 0
	s_delay_alu instid0(VALU_DEP_2) | instskip(NEXT) | instid1(VALU_DEP_2)
	v_mad_u64_u32 v[6:7], null, 0xcd9e8d57, v13, 0
	v_xor3_b32 v5, v19, v5, v39
	s_delay_alu instid0(VALU_DEP_2) | instskip(NEXT) | instid1(VALU_DEP_2)
	v_xor3_b32 v7, v18, v7, v12
	v_mad_u64_u32 v[12:13], null, 0xcd9e8d57, v5, 0
	s_delay_alu instid0(VALU_DEP_2) | instskip(NEXT) | instid1(VALU_DEP_2)
	v_mad_u64_u32 v[39:40], null, 0xd2511f53, v7, 0
	v_xor3_b32 v6, v21, v13, v6
	s_delay_alu instid0(VALU_DEP_2) | instskip(NEXT) | instid1(VALU_DEP_2)
	;; [unrolled: 6-line block ×7, first 2 shown]
	v_xor3_b32 v39, v32, v5, v12
	v_mad_u64_u32 v[5:6], null, 0xcd9e8d57, v7, 0
	s_delay_alu instid0(VALU_DEP_2) | instskip(NEXT) | instid1(VALU_DEP_2)
	v_mad_u64_u32 v[12:13], null, 0xd2511f53, v39, 0
	v_xor3_b32 v4, v6, v4, v31
	s_delay_alu instid0(VALU_DEP_2)
	v_xor3_b32 v6, v13, v40, v34
	v_cmpx_lt_i32_e32 1, v30
	s_xor_b32 s0, exec_lo, s0
	s_cbranch_execnz .LBB2_14
; %bb.9:                                ;   in Loop: Header=BB2_8 Depth=1
	s_and_not1_saveexec_b32 s0, s0
	s_cbranch_execnz .LBB2_19
.LBB2_10:                               ;   in Loop: Header=BB2_8 Depth=1
	s_or_b32 exec_lo, exec_lo, s0
	s_delay_alu instid0(SALU_CYCLE_1)
	s_mov_b32 s18, exec_lo
	v_cmpx_gt_i64_e64 s[4:5], v[10:11]
	s_cbranch_execz .LBB2_12
.LBB2_11:                               ;   in Loop: Header=BB2_8 Depth=1
	v_cvt_f32_u32_e32 v0, v0
	s_delay_alu instid0(VALU_DEP_1) | instskip(NEXT) | instid1(VALU_DEP_1)
	v_fmaak_f32 v0, 0x2f800000, v0, 0x2f800000
	v_cvt_f64_f32_e32 v[2:3], v0
	v_add_nc_u32_e32 v0, s17, v36
	s_delay_alu instid0(VALU_DEP_1) | instskip(SKIP_1) | instid1(VALU_DEP_1)
	v_ashrrev_i32_e32 v7, 31, v0
	v_add_co_u32 v39, s0, s12, v0
	v_add_co_ci_u32_e64 v40, s0, s13, v7, s0
	v_fma_f64 v[2:3], s[8:9], v[2:3], s[10:11]
	s_delay_alu instid0(VALU_DEP_1)
	v_cmp_eq_f64_e32 vcc_lo, s[6:7], v[2:3]
	v_cndmask_b32_e64 v3, v3, s11, vcc_lo
	v_cndmask_b32_e64 v2, v2, s10, vcc_lo
	global_store_b64 v[39:40], v[2:3], off
.LBB2_12:                               ;   in Loop: Header=BB2_8 Depth=1
	s_or_b32 exec_lo, exec_lo, s18
	v_add_co_u32 v2, vcc_lo, s14, v10
	v_add_co_ci_u32_e32 v3, vcc_lo, 0, v11, vcc_lo
	s_mov_b32 s18, exec_lo
	s_delay_alu instid0(VALU_DEP_1)
	v_cmpx_gt_i64_e64 s[4:5], v[2:3]
	s_cbranch_execz .LBB2_7
; %bb.13:                               ;   in Loop: Header=BB2_8 Depth=1
	v_cvt_f32_u32_e32 v0, v1
	v_add_nc_u32_e32 v2, s17, v37
	s_delay_alu instid0(VALU_DEP_2) | instskip(NEXT) | instid1(VALU_DEP_2)
	v_fmaak_f32 v0, 0x2f800000, v0, 0x2f800000
	v_ashrrev_i32_e32 v3, 31, v2
	v_add_co_u32 v2, s0, s12, v2
	s_delay_alu instid0(VALU_DEP_3) | instskip(NEXT) | instid1(VALU_DEP_3)
	v_cvt_f64_f32_e32 v[0:1], v0
	v_add_co_ci_u32_e64 v3, s0, s13, v3, s0
	s_delay_alu instid0(VALU_DEP_2) | instskip(NEXT) | instid1(VALU_DEP_1)
	v_fma_f64 v[0:1], s[8:9], v[0:1], s[10:11]
	v_cmp_eq_f64_e32 vcc_lo, s[6:7], v[0:1]
	v_cndmask_b32_e64 v1, v1, s11, vcc_lo
	v_cndmask_b32_e64 v0, v0, s10, vcc_lo
	global_store_b64 v[2:3], v[0:1], off
	s_branch .LBB2_7
.LBB2_14:                               ;   in Loop: Header=BB2_8 Depth=1
	s_mov_b32 s18, exec_lo
	v_cmpx_lt_i32_e32 2, v30
	s_xor_b32 s18, exec_lo, s18
; %bb.15:                               ;   in Loop: Header=BB2_8 Depth=1
	v_dual_mov_b32 v0, v3 :: v_dual_mov_b32 v1, v4
; %bb.16:                               ;   in Loop: Header=BB2_8 Depth=1
	s_and_not1_saveexec_b32 s18, s18
; %bb.17:                               ;   in Loop: Header=BB2_8 Depth=1
	v_dual_mov_b32 v0, v2 :: v_dual_mov_b32 v1, v3
; %bb.18:                               ;   in Loop: Header=BB2_8 Depth=1
	s_or_b32 exec_lo, exec_lo, s18
	s_and_not1_saveexec_b32 s0, s0
	s_cbranch_execz .LBB2_10
.LBB2_19:                               ;   in Loop: Header=BB2_8 Depth=1
	s_mov_b32 s18, exec_lo
	v_cmpx_eq_u32_e32 1, v30
; %bb.20:                               ;   in Loop: Header=BB2_8 Depth=1
	v_dual_mov_b32 v0, v1 :: v_dual_mov_b32 v1, v2
; %bb.21:                               ;   in Loop: Header=BB2_8 Depth=1
	s_or_b32 exec_lo, exec_lo, s18
	s_delay_alu instid0(SALU_CYCLE_1) | instskip(NEXT) | instid1(SALU_CYCLE_1)
	s_or_b32 exec_lo, exec_lo, s0
	s_mov_b32 s18, exec_lo
	v_cmpx_gt_i64_e64 s[4:5], v[10:11]
	s_cbranch_execnz .LBB2_11
	s_branch .LBB2_12
.LBB2_22:
	s_endpgm
.LBB2_23:
                                        ; implicit-def: $sgpr2_sgpr3
	s_branch .LBB2_4
	.section	.rodata,"a",@progbits
	.p2align	6, 0x0
	.amdhsa_kernel _ZN2at6native12_GLOBAL__N_143distribution_elementwise_grid_stride_kernelIdLi2EZNS0_9templates4cuda21uniform_and_transformIddPNS_17CUDAGeneratorImplEZZZNS4_14uniform_kernelIS7_EEvRNS_18TensorIteratorBaseEddT_ENKUlvE_clEvENKUlvE_clEvEUldE_EEvSA_T1_T2_EUlP25hiprandStatePhilox4_32_10E0_ZNS1_27distribution_nullary_kernelIdd15HIP_vector_typeIfLj4EES7_SJ_SE_EEvSA_SG_RKT3_T4_EUlidE_EEvlNS_15PhiloxCudaStateESF_SG_
		.amdhsa_group_segment_fixed_size 0
		.amdhsa_private_segment_fixed_size 0
		.amdhsa_kernarg_size 344
		.amdhsa_user_sgpr_count 15
		.amdhsa_user_sgpr_dispatch_ptr 0
		.amdhsa_user_sgpr_queue_ptr 0
		.amdhsa_user_sgpr_kernarg_segment_ptr 1
		.amdhsa_user_sgpr_dispatch_id 0
		.amdhsa_user_sgpr_private_segment_size 0
		.amdhsa_wavefront_size32 1
		.amdhsa_uses_dynamic_stack 0
		.amdhsa_enable_private_segment 0
		.amdhsa_system_sgpr_workgroup_id_x 1
		.amdhsa_system_sgpr_workgroup_id_y 0
		.amdhsa_system_sgpr_workgroup_id_z 0
		.amdhsa_system_sgpr_workgroup_info 0
		.amdhsa_system_vgpr_workitem_id 0
		.amdhsa_next_free_vgpr 42
		.amdhsa_next_free_sgpr 23
		.amdhsa_reserve_vcc 1
		.amdhsa_float_round_mode_32 0
		.amdhsa_float_round_mode_16_64 0
		.amdhsa_float_denorm_mode_32 3
		.amdhsa_float_denorm_mode_16_64 3
		.amdhsa_dx10_clamp 1
		.amdhsa_ieee_mode 1
		.amdhsa_fp16_overflow 0
		.amdhsa_workgroup_processor_mode 1
		.amdhsa_memory_ordered 1
		.amdhsa_forward_progress 0
		.amdhsa_shared_vgpr_count 0
		.amdhsa_exception_fp_ieee_invalid_op 0
		.amdhsa_exception_fp_denorm_src 0
		.amdhsa_exception_fp_ieee_div_zero 0
		.amdhsa_exception_fp_ieee_overflow 0
		.amdhsa_exception_fp_ieee_underflow 0
		.amdhsa_exception_fp_ieee_inexact 0
		.amdhsa_exception_int_div_zero 0
	.end_amdhsa_kernel
	.section	.text._ZN2at6native12_GLOBAL__N_143distribution_elementwise_grid_stride_kernelIdLi2EZNS0_9templates4cuda21uniform_and_transformIddPNS_17CUDAGeneratorImplEZZZNS4_14uniform_kernelIS7_EEvRNS_18TensorIteratorBaseEddT_ENKUlvE_clEvENKUlvE_clEvEUldE_EEvSA_T1_T2_EUlP25hiprandStatePhilox4_32_10E0_ZNS1_27distribution_nullary_kernelIdd15HIP_vector_typeIfLj4EES7_SJ_SE_EEvSA_SG_RKT3_T4_EUlidE_EEvlNS_15PhiloxCudaStateESF_SG_,"axG",@progbits,_ZN2at6native12_GLOBAL__N_143distribution_elementwise_grid_stride_kernelIdLi2EZNS0_9templates4cuda21uniform_and_transformIddPNS_17CUDAGeneratorImplEZZZNS4_14uniform_kernelIS7_EEvRNS_18TensorIteratorBaseEddT_ENKUlvE_clEvENKUlvE_clEvEUldE_EEvSA_T1_T2_EUlP25hiprandStatePhilox4_32_10E0_ZNS1_27distribution_nullary_kernelIdd15HIP_vector_typeIfLj4EES7_SJ_SE_EEvSA_SG_RKT3_T4_EUlidE_EEvlNS_15PhiloxCudaStateESF_SG_,comdat
.Lfunc_end2:
	.size	_ZN2at6native12_GLOBAL__N_143distribution_elementwise_grid_stride_kernelIdLi2EZNS0_9templates4cuda21uniform_and_transformIddPNS_17CUDAGeneratorImplEZZZNS4_14uniform_kernelIS7_EEvRNS_18TensorIteratorBaseEddT_ENKUlvE_clEvENKUlvE_clEvEUldE_EEvSA_T1_T2_EUlP25hiprandStatePhilox4_32_10E0_ZNS1_27distribution_nullary_kernelIdd15HIP_vector_typeIfLj4EES7_SJ_SE_EEvSA_SG_RKT3_T4_EUlidE_EEvlNS_15PhiloxCudaStateESF_SG_, .Lfunc_end2-_ZN2at6native12_GLOBAL__N_143distribution_elementwise_grid_stride_kernelIdLi2EZNS0_9templates4cuda21uniform_and_transformIddPNS_17CUDAGeneratorImplEZZZNS4_14uniform_kernelIS7_EEvRNS_18TensorIteratorBaseEddT_ENKUlvE_clEvENKUlvE_clEvEUldE_EEvSA_T1_T2_EUlP25hiprandStatePhilox4_32_10E0_ZNS1_27distribution_nullary_kernelIdd15HIP_vector_typeIfLj4EES7_SJ_SE_EEvSA_SG_RKT3_T4_EUlidE_EEvlNS_15PhiloxCudaStateESF_SG_
                                        ; -- End function
	.section	.AMDGPU.csdata,"",@progbits
; Kernel info:
; codeLenInByte = 2700
; NumSgprs: 25
; NumVgprs: 42
; ScratchSize: 0
; MemoryBound: 0
; FloatMode: 240
; IeeeMode: 1
; LDSByteSize: 0 bytes/workgroup (compile time only)
; SGPRBlocks: 3
; VGPRBlocks: 5
; NumSGPRsForWavesPerEU: 25
; NumVGPRsForWavesPerEU: 42
; Occupancy: 16
; WaveLimiterHint : 0
; COMPUTE_PGM_RSRC2:SCRATCH_EN: 0
; COMPUTE_PGM_RSRC2:USER_SGPR: 15
; COMPUTE_PGM_RSRC2:TRAP_HANDLER: 0
; COMPUTE_PGM_RSRC2:TGID_X_EN: 1
; COMPUTE_PGM_RSRC2:TGID_Y_EN: 0
; COMPUTE_PGM_RSRC2:TGID_Z_EN: 0
; COMPUTE_PGM_RSRC2:TIDIG_COMP_CNT: 0
	.section	.text._ZN2at6native12_GLOBAL__N_143distribution_elementwise_grid_stride_kernelIdLi2EZNS0_9templates4cuda21uniform_and_transformIddPNS_17CUDAGeneratorImplEZZZNS4_14uniform_kernelIS7_EEvRNS_18TensorIteratorBaseEddT_ENKUlvE_clEvENKUlvE_clEvEUldE_EEvSA_T1_T2_EUlP25hiprandStatePhilox4_32_10E0_ZNS1_27distribution_nullary_kernelIdd15HIP_vector_typeIfLj4EES7_SJ_SE_EEvSA_SG_RKT3_T4_EUlidE0_EEvlNS_15PhiloxCudaStateESF_SG_,"axG",@progbits,_ZN2at6native12_GLOBAL__N_143distribution_elementwise_grid_stride_kernelIdLi2EZNS0_9templates4cuda21uniform_and_transformIddPNS_17CUDAGeneratorImplEZZZNS4_14uniform_kernelIS7_EEvRNS_18TensorIteratorBaseEddT_ENKUlvE_clEvENKUlvE_clEvEUldE_EEvSA_T1_T2_EUlP25hiprandStatePhilox4_32_10E0_ZNS1_27distribution_nullary_kernelIdd15HIP_vector_typeIfLj4EES7_SJ_SE_EEvSA_SG_RKT3_T4_EUlidE0_EEvlNS_15PhiloxCudaStateESF_SG_,comdat
	.globl	_ZN2at6native12_GLOBAL__N_143distribution_elementwise_grid_stride_kernelIdLi2EZNS0_9templates4cuda21uniform_and_transformIddPNS_17CUDAGeneratorImplEZZZNS4_14uniform_kernelIS7_EEvRNS_18TensorIteratorBaseEddT_ENKUlvE_clEvENKUlvE_clEvEUldE_EEvSA_T1_T2_EUlP25hiprandStatePhilox4_32_10E0_ZNS1_27distribution_nullary_kernelIdd15HIP_vector_typeIfLj4EES7_SJ_SE_EEvSA_SG_RKT3_T4_EUlidE0_EEvlNS_15PhiloxCudaStateESF_SG_ ; -- Begin function _ZN2at6native12_GLOBAL__N_143distribution_elementwise_grid_stride_kernelIdLi2EZNS0_9templates4cuda21uniform_and_transformIddPNS_17CUDAGeneratorImplEZZZNS4_14uniform_kernelIS7_EEvRNS_18TensorIteratorBaseEddT_ENKUlvE_clEvENKUlvE_clEvEUldE_EEvSA_T1_T2_EUlP25hiprandStatePhilox4_32_10E0_ZNS1_27distribution_nullary_kernelIdd15HIP_vector_typeIfLj4EES7_SJ_SE_EEvSA_SG_RKT3_T4_EUlidE0_EEvlNS_15PhiloxCudaStateESF_SG_
	.p2align	8
	.type	_ZN2at6native12_GLOBAL__N_143distribution_elementwise_grid_stride_kernelIdLi2EZNS0_9templates4cuda21uniform_and_transformIddPNS_17CUDAGeneratorImplEZZZNS4_14uniform_kernelIS7_EEvRNS_18TensorIteratorBaseEddT_ENKUlvE_clEvENKUlvE_clEvEUldE_EEvSA_T1_T2_EUlP25hiprandStatePhilox4_32_10E0_ZNS1_27distribution_nullary_kernelIdd15HIP_vector_typeIfLj4EES7_SJ_SE_EEvSA_SG_RKT3_T4_EUlidE0_EEvlNS_15PhiloxCudaStateESF_SG_,@function
_ZN2at6native12_GLOBAL__N_143distribution_elementwise_grid_stride_kernelIdLi2EZNS0_9templates4cuda21uniform_and_transformIddPNS_17CUDAGeneratorImplEZZZNS4_14uniform_kernelIS7_EEvRNS_18TensorIteratorBaseEddT_ENKUlvE_clEvENKUlvE_clEvEUldE_EEvSA_T1_T2_EUlP25hiprandStatePhilox4_32_10E0_ZNS1_27distribution_nullary_kernelIdd15HIP_vector_typeIfLj4EES7_SJ_SE_EEvSA_SG_RKT3_T4_EUlidE0_EEvlNS_15PhiloxCudaStateESF_SG_: ; @_ZN2at6native12_GLOBAL__N_143distribution_elementwise_grid_stride_kernelIdLi2EZNS0_9templates4cuda21uniform_and_transformIddPNS_17CUDAGeneratorImplEZZZNS4_14uniform_kernelIS7_EEvRNS_18TensorIteratorBaseEddT_ENKUlvE_clEvENKUlvE_clEvEUldE_EEvSA_T1_T2_EUlP25hiprandStatePhilox4_32_10E0_ZNS1_27distribution_nullary_kernelIdd15HIP_vector_typeIfLj4EES7_SJ_SE_EEvSA_SG_RKT3_T4_EUlidE0_EEvlNS_15PhiloxCudaStateESF_SG_
; %bb.0:
	s_clause 0x2
	s_load_b64 s[4:5], s[0:1], 0x10
	s_load_b128 s[20:23], s[0:1], 0x0
	s_load_b32 s2, s[0:1], 0x20
	s_waitcnt lgkmcnt(0)
	v_dual_mov_b32 v2, s4 :: v_dual_mov_b32 v3, s5
	v_dual_mov_b32 v8, s22 :: v_dual_mov_b32 v9, s23
	s_bitcmp0_b32 s2, 0
	s_mov_b32 s2, 0
	s_cbranch_scc1 .LBB3_2
; %bb.1:
	v_dual_mov_b32 v1, s4 :: v_dual_mov_b32 v2, s5
	v_dual_mov_b32 v4, s22 :: v_dual_mov_b32 v5, s23
	s_load_b64 s[4:5], s[0:1], 0x18
	flat_load_b64 v[2:3], v[1:2]
	flat_load_b64 v[8:9], v[4:5]
	s_waitcnt vmcnt(1) lgkmcnt(0)
	v_add_co_u32 v2, vcc_lo, v2, s4
	v_add_co_ci_u32_e32 v3, vcc_lo, s5, v3, vcc_lo
.LBB3_2:
	s_clause 0x1
	s_load_b32 s3, s[0:1], 0x164
	s_load_b32 s4, s[0:1], 0x158
	s_waitcnt lgkmcnt(0)
	s_and_b32 s5, s3, 0xffff
	s_add_u32 s6, s20, -1
	s_mul_i32 s30, s4, s5
	s_addc_u32 s3, s21, -1
	s_lshl_b32 s31, s30, 1
	s_cmp_lg_u64 s[2:3], 0
	s_cbranch_scc0 .LBB3_49
; %bb.3:
	v_cvt_f32_ubyte0_e32 v1, 0
	v_cvt_f32_u32_e32 v4, s31
	s_sub_u32 s8, 0, s31
	s_subb_u32 s9, 0, 0
	s_delay_alu instid0(VALU_DEP_1) | instskip(NEXT) | instid1(VALU_DEP_1)
	v_fmamk_f32 v1, v1, 0x4f800000, v4
	v_rcp_f32_e32 v1, v1
	s_waitcnt_depctr 0xfff
	v_mul_f32_e32 v1, 0x5f7ffffc, v1
	s_delay_alu instid0(VALU_DEP_1) | instskip(NEXT) | instid1(VALU_DEP_1)
	v_mul_f32_e32 v4, 0x2f800000, v1
	v_trunc_f32_e32 v4, v4
	s_delay_alu instid0(VALU_DEP_1) | instskip(SKIP_1) | instid1(VALU_DEP_2)
	v_fmamk_f32 v1, v4, 0xcf800000, v1
	v_cvt_u32_f32_e32 v4, v4
	v_cvt_u32_f32_e32 v1, v1
	s_delay_alu instid0(VALU_DEP_2) | instskip(NEXT) | instid1(VALU_DEP_2)
	v_readfirstlane_b32 s2, v4
	v_readfirstlane_b32 s7, v1
	s_delay_alu instid0(VALU_DEP_2) | instskip(NEXT) | instid1(VALU_DEP_1)
	s_mul_i32 s10, s8, s2
	s_mul_hi_u32 s12, s8, s7
	s_mul_i32 s11, s9, s7
	s_add_i32 s10, s12, s10
	s_mul_i32 s13, s8, s7
	s_add_i32 s10, s10, s11
	s_mul_hi_u32 s12, s7, s13
	s_mul_hi_u32 s14, s2, s13
	s_mul_i32 s11, s2, s13
	s_mul_hi_u32 s13, s7, s10
	s_mul_i32 s7, s7, s10
	s_mul_hi_u32 s16, s2, s10
	s_add_u32 s7, s12, s7
	s_addc_u32 s12, 0, s13
	s_add_u32 s7, s7, s11
	s_mul_i32 s10, s2, s10
	s_addc_u32 s7, s12, s14
	s_addc_u32 s11, s16, 0
	s_add_u32 s7, s7, s10
	s_addc_u32 s10, 0, s11
	v_add_co_u32 v1, s7, v1, s7
	s_delay_alu instid0(VALU_DEP_1) | instskip(SKIP_1) | instid1(VALU_DEP_1)
	s_cmp_lg_u32 s7, 0
	s_addc_u32 s2, s2, s10
	v_readfirstlane_b32 s7, v1
	s_mul_i32 s10, s8, s2
	s_delay_alu instid0(VALU_DEP_1)
	s_mul_hi_u32 s11, s8, s7
	s_mul_i32 s9, s9, s7
	s_add_i32 s10, s11, s10
	s_mul_i32 s8, s8, s7
	s_add_i32 s10, s10, s9
	s_mul_hi_u32 s11, s2, s8
	s_mul_i32 s12, s2, s8
	s_mul_hi_u32 s8, s7, s8
	s_mul_hi_u32 s13, s7, s10
	s_mul_i32 s7, s7, s10
	s_mul_hi_u32 s9, s2, s10
	s_add_u32 s7, s8, s7
	s_addc_u32 s8, 0, s13
	s_add_u32 s7, s7, s12
	s_mul_i32 s10, s2, s10
	s_addc_u32 s7, s8, s11
	s_addc_u32 s8, s9, 0
	s_add_u32 s7, s7, s10
	s_addc_u32 s8, 0, s8
	v_add_co_u32 v1, s7, v1, s7
	s_delay_alu instid0(VALU_DEP_1) | instskip(SKIP_2) | instid1(VALU_DEP_1)
	s_cmp_lg_u32 s7, 0
	s_addc_u32 s7, s2, s8
	s_ashr_i32 s8, s3, 31
	v_readfirstlane_b32 s10, v1
	s_add_u32 s2, s6, s8
	s_mov_b32 s9, s8
	s_addc_u32 s3, s3, s8
	s_delay_alu instid0(SALU_CYCLE_1) | instskip(NEXT) | instid1(SALU_CYCLE_1)
	s_xor_b64 s[2:3], s[2:3], s[8:9]
	s_mul_i32 s12, s2, s7
	s_mul_hi_u32 s13, s2, s10
	s_mul_hi_u32 s11, s2, s7
	;; [unrolled: 1-line block ×3, first 2 shown]
	s_mul_i32 s10, s3, s10
	s_add_u32 s12, s13, s12
	s_addc_u32 s11, 0, s11
	s_mul_hi_u32 s14, s3, s7
	s_add_u32 s10, s12, s10
	s_mul_i32 s7, s3, s7
	s_addc_u32 s10, s11, s16
	s_addc_u32 s11, s14, 0
	s_add_u32 s7, s10, s7
	s_addc_u32 s10, 0, s11
	s_mul_i32 s12, s31, s7
	s_add_u32 s11, s7, 1
	v_sub_co_u32 v1, s2, s2, s12
	s_mul_hi_u32 s12, s31, s7
	s_addc_u32 s13, s10, 0
	s_mul_i32 s14, s31, s10
	s_delay_alu instid0(VALU_DEP_1)
	v_sub_co_u32 v4, s16, v1, s31
	s_add_u32 s17, s7, 2
	s_addc_u32 s18, s10, 0
	s_add_i32 s12, s12, s14
	s_cmp_lg_u32 s2, 0
	v_readfirstlane_b32 s2, v4
	s_subb_u32 s3, s3, s12
	s_cmp_lg_u32 s16, 0
	s_subb_u32 s12, s3, 0
	s_delay_alu instid0(VALU_DEP_1) | instskip(SKIP_4) | instid1(SALU_CYCLE_1)
	s_cmp_ge_u32 s2, s31
	s_cselect_b32 s2, -1, 0
	s_cmp_eq_u32 s12, 0
	v_readfirstlane_b32 s12, v1
	s_cselect_b32 s2, s2, -1
	s_cmp_lg_u32 s2, 0
	s_cselect_b32 s2, s17, s11
	s_cselect_b32 s11, s18, s13
	s_cmp_ge_u32 s12, s31
	s_cselect_b32 s12, -1, 0
	s_cmp_eq_u32 s3, 0
	s_cselect_b32 s3, s12, -1
	s_delay_alu instid0(SALU_CYCLE_1) | instskip(SKIP_2) | instid1(SALU_CYCLE_1)
	s_cmp_lg_u32 s3, 0
	s_cselect_b32 s3, s11, s10
	s_cselect_b32 s2, s2, s7
	s_xor_b64 s[2:3], s[2:3], s[8:9]
	s_delay_alu instid0(SALU_CYCLE_1)
	s_sub_u32 s2, s2, s8
	s_subb_u32 s3, s3, s8
	s_cbranch_execnz .LBB3_5
.LBB3_4:
	v_cvt_f32_u32_e32 v1, s31
	s_sub_i32 s3, 0, s31
	s_delay_alu instid0(VALU_DEP_1) | instskip(SKIP_2) | instid1(VALU_DEP_1)
	v_rcp_iflag_f32_e32 v1, v1
	s_waitcnt_depctr 0xfff
	v_mul_f32_e32 v1, 0x4f7ffffe, v1
	v_cvt_u32_f32_e32 v1, v1
	s_delay_alu instid0(VALU_DEP_1) | instskip(NEXT) | instid1(VALU_DEP_1)
	v_readfirstlane_b32 s2, v1
	s_mul_i32 s3, s3, s2
	s_delay_alu instid0(SALU_CYCLE_1) | instskip(NEXT) | instid1(SALU_CYCLE_1)
	s_mul_hi_u32 s3, s2, s3
	s_add_i32 s2, s2, s3
	s_delay_alu instid0(SALU_CYCLE_1) | instskip(NEXT) | instid1(SALU_CYCLE_1)
	s_mul_hi_u32 s2, s6, s2
	s_mul_i32 s3, s2, s31
	s_delay_alu instid0(SALU_CYCLE_1)
	s_sub_i32 s3, s6, s3
	s_add_i32 s6, s2, 1
	s_sub_i32 s7, s3, s31
	s_cmp_ge_u32 s3, s31
	s_cselect_b32 s2, s6, s2
	s_cselect_b32 s3, s7, s3
	s_add_i32 s6, s2, 1
	s_cmp_ge_u32 s3, s31
	s_mov_b32 s3, 0
	s_cselect_b32 s2, s6, s2
.LBB3_5:
	v_mov_b32_e32 v1, 0
	s_add_u32 s2, s2, 1
	s_addc_u32 s3, s3, 0
	s_mul_hi_u32 s6, s30, s2
	s_mul_i32 s3, s30, s3
	v_mad_u64_u32 v[10:11], null, s5, s15, v[0:1]
	s_mul_hi_u32 s4, s4, s5
	s_add_i32 s3, s6, s3
	s_mul_i32 s4, s4, s2
	s_mul_i32 s2, s30, s2
	s_add_i32 s3, s3, s4
	s_mov_b32 s4, exec_lo
	s_lshl_b64 s[2:3], s[2:3], 1
	s_delay_alu instid0(SALU_CYCLE_1)
	v_cmpx_gt_i64_e64 s[2:3], v[10:11]
	s_cbranch_execz .LBB3_48
; %bb.6:
	v_alignbit_b32 v14, v3, v2, 2
	v_mad_u64_u32 v[4:5], null, 0xcd9e8d57, v10, 0
	v_lshrrev_b32_e32 v15, 2, v3
	s_waitcnt vmcnt(0)
	v_dual_mov_b32 v33, v9 :: v_dual_and_b32 v24, 3, v2
	v_mad_u64_u32 v[0:1], null, 0xd2511f53, v14, 0
	v_add_co_u32 v17, null, 0x9e3779b9, v8
	v_xor3_b32 v3, v8, v5, v15
	s_delay_alu instid0(VALU_DEP_4) | instskip(SKIP_2) | instid1(VALU_DEP_4)
	v_add_co_u32 v16, null, 0xbb67ae85, v33
	v_add_co_u32 v18, null, 0x3c6ef372, v8
	v_xor_b32_e32 v1, v1, v9
	v_mad_u64_u32 v[5:6], null, 0xd2511f53, v3, 0
	v_add_co_u32 v19, null, 0x76cf5d0a, v33
	s_delay_alu instid0(VALU_DEP_3) | instskip(SKIP_2) | instid1(VALU_DEP_3)
	v_xor_b32_e32 v1, v1, v11
	v_add_co_u32 v20, null, 0x32370b8f, v33
	v_add_co_u32 v21, null, 0xdaa66d2b, v8
	v_mad_u64_u32 v[12:13], null, 0xcd9e8d57, v1, 0
	v_xor3_b32 v3, v16, v6, v0
	v_add_co_u32 v22, null, 0x78dde6e4, v8
	v_add_co_u32 v23, null, 0xed9eba14, v33
	s_delay_alu instid0(VALU_DEP_3) | instskip(SKIP_3) | instid1(VALU_DEP_3)
	v_mad_u64_u32 v[0:1], null, 0xcd9e8d57, v3, 0
	v_xor3_b32 v6, v17, v13, v4
	v_add_co_u32 v26, null, 0xa9066899, v33
	v_add_co_u32 v27, null, 0x1715609d, v8
	v_mad_u64_u32 v[3:4], null, 0xd2511f53, v6, 0
	v_xor3_b32 v1, v18, v1, v12
	v_add_co_u32 v29, null, 0xb54cda56, v8
	v_add_co_u32 v30, null, 0x646e171e, v33
	s_load_b256 s[4:11], s[0:1], 0x30
	s_delay_alu instid0(VALU_DEP_4) | instskip(SKIP_2) | instid1(VALU_DEP_3)
	v_xor3_b32 v12, v19, v4, v5
	v_mad_u64_u32 v[4:5], null, 0xd2511f53, v1, 0
	v_add_co_u32 v28, null, 0x5384540f, v8
	v_mad_u64_u32 v[6:7], null, 0xcd9e8d57, v12, 0
	v_add_co_u32 v32, null, 0x1fd5c5a3, v33
	s_delay_alu instid0(VALU_DEP_4) | instskip(SKIP_3) | instid1(VALU_DEP_4)
	v_xor3_b32 v3, v20, v5, v3
	v_add_co_u32 v31, null, 0xf1bbcdc8, v8
	v_add_co_u32 v33, null, 0xdb3d7428, v33
	v_xor3_b32 v5, v21, v7, v0
	v_mad_u64_u32 v[0:1], null, 0xcd9e8d57, v3, 0
	s_add_u32 s22, s0, 48
	s_load_b64 s[24:25], s[0:1], 0xf4
	s_delay_alu instid0(VALU_DEP_2) | instskip(SKIP_2) | instid1(VALU_DEP_2)
	v_mad_u64_u32 v[12:13], null, 0xd2511f53, v5, 0
	s_load_b256 s[12:19], s[0:1], 0x138
	s_addc_u32 s23, s1, 0
	v_xor3_b32 v3, v22, v1, v6
	s_waitcnt lgkmcnt(0)
	s_add_i32 s26, s4, -1
	v_dual_mov_b32 v36, v11 :: v_dual_add_nc_u32 v25, 0x8ff34781, v8
	s_delay_alu instid0(VALU_DEP_3) | instskip(SKIP_3) | instid1(VALU_DEP_3)
	v_xor3_b32 v5, v23, v13, v4
	v_mad_u64_u32 v[1:2], null, 0xd2511f53, v3, 0
	s_cmp_gt_u32 s26, 1
	v_dual_mov_b32 v35, v10 :: v_dual_add_nc_u32 v34, 0x96a522ad, v9
	v_mad_u64_u32 v[3:4], null, 0xcd9e8d57, v5, 0
	s_cselect_b32 s11, -1, 0
	s_delay_alu instid0(VALU_DEP_3) | instskip(SKIP_4) | instid1(VALU_DEP_2)
	v_xor3_b32 v2, v26, v2, v12
	s_cmp_lg_u32 s4, 0
	s_mov_b32 s33, 0
	s_cselect_b32 s34, -1, 0
	s_add_u32 s0, s0, 0xf4
	v_xor3_b32 v0, v27, v4, v0
	v_mad_u64_u32 v[4:5], null, 0xcd9e8d57, v2, 0
	s_addc_u32 s1, s1, 0
	s_min_u32 s27, s26, 15
	s_delay_alu instid0(VALU_DEP_2) | instskip(SKIP_1) | instid1(VALU_DEP_2)
	v_mad_u64_u32 v[6:7], null, 0xd2511f53, v0, 0
	s_cmp_gt_u32 s4, 1
	v_xor3_b32 v2, v29, v5, v3
	s_cselect_b32 s4, -1, 0
	s_add_i32 s27, s27, 1
	s_delay_alu instid0(VALU_DEP_2) | instskip(NEXT) | instid1(VALU_DEP_2)
	v_xor3_b32 v5, v30, v7, v1
	v_mad_u64_u32 v[0:1], null, 0xd2511f53, v2, 0
	s_and_b32 s35, s27, 3
	s_cmp_lg_u32 s26, 2
	s_delay_alu instid0(VALU_DEP_2) | instskip(SKIP_2) | instid1(VALU_DEP_2)
	v_mad_u64_u32 v[2:3], null, 0xcd9e8d57, v5, 0
	s_cselect_b32 s36, -1, 0
	s_and_b32 s37, s27, 28
	v_xor3_b32 v1, v32, v1, v6
	s_cmp_lg_u32 s35, 0
	s_cselect_b32 s38, -1, 0
	s_delay_alu instid0(VALU_DEP_2) | instskip(NEXT) | instid1(VALU_DEP_2)
	v_xor3_b32 v3, v28, v3, v4
	v_mad_u64_u32 v[4:5], null, 0xcd9e8d57, v1, 0
	s_delay_alu instid0(VALU_DEP_2) | instskip(NEXT) | instid1(VALU_DEP_2)
	v_mad_u64_u32 v[6:7], null, 0xd2511f53, v3, 0
	v_xor3_b32 v1, v31, v5, v2
	s_delay_alu instid0(VALU_DEP_2) | instskip(NEXT) | instid1(VALU_DEP_2)
	v_xor3_b32 v0, v33, v7, v0
	v_mad_u64_u32 v[12:13], null, 0xd2511f53, v1, 0
	s_delay_alu instid0(VALU_DEP_2) | instskip(NEXT) | instid1(VALU_DEP_2)
	v_mad_u64_u32 v[1:2], null, 0xcd9e8d57, v0, 0
	v_mov_b32_e32 v3, v12
	s_delay_alu instid0(VALU_DEP_2) | instskip(NEXT) | instid1(VALU_DEP_4)
	v_xor3_b32 v0, v2, v4, v25
	v_xor3_b32 v2, v13, v6, v34
	s_branch .LBB3_9
.LBB3_7:                                ;   in Loop: Header=BB3_9 Depth=1
	v_cvt_f32_u32_e32 v1, v1
	s_delay_alu instid0(VALU_DEP_1) | instskip(NEXT) | instid1(VALU_DEP_1)
	v_fmaak_f32 v1, 0x2f800000, v1, 0x2f800000
	v_cvt_f64_f32_e32 v[1:2], v1
	s_delay_alu instid0(VALU_DEP_1) | instskip(NEXT) | instid1(VALU_DEP_1)
	v_fma_f64 v[1:2], s[14:15], v[1:2], s[16:17]
	v_cmp_eq_f64_e32 vcc_lo, s[18:19], v[1:2]
	v_cndmask_b32_e64 v2, v2, s17, vcc_lo
	v_cndmask_b32_e64 v1, v1, s16, vcc_lo
	global_store_b64 v0, v[1:2], s[12:13]
.LBB3_8:                                ;   in Loop: Header=BB3_9 Depth=1
	s_or_b32 exec_lo, exec_lo, s39
	v_add_co_u32 v10, vcc_lo, v10, s31
	v_add_co_ci_u32_e32 v11, vcc_lo, 0, v11, vcc_lo
	v_mov_b32_e32 v7, v12
	v_dual_mov_b32 v0, v4 :: v_dual_mov_b32 v1, v5
	s_delay_alu instid0(VALU_DEP_3) | instskip(NEXT) | instid1(VALU_DEP_3)
	v_cmp_le_i64_e32 vcc_lo, s[2:3], v[10:11]
	v_dual_mov_b32 v2, v6 :: v_dual_mov_b32 v3, v7
	s_waitcnt_vscnt null, 0x0
	s_barrier
	buffer_gl0_inv
	s_or_b32 s33, vcc_lo, s33
	s_delay_alu instid0(SALU_CYCLE_1)
	s_and_not1_b32 exec_lo, exec_lo, s33
	s_cbranch_execz .LBB3_48
.LBB3_9:                                ; =>This Loop Header: Depth=1
                                        ;     Child Loop BB3_24 Depth 2
                                        ;     Child Loop BB3_29 Depth 2
                                        ;     Child Loop BB3_39 Depth 2
                                        ;     Child Loop BB3_44 Depth 2
	v_add_co_u32 v14, vcc_lo, v14, 1
	s_delay_alu instid0(VALU_DEP_1) | instskip(SKIP_2) | instid1(VALU_DEP_1)
	v_cndmask_b32_e64 v4, 0, 1, vcc_lo
	v_add_co_ci_u32_e32 v15, vcc_lo, 0, v15, vcc_lo
	s_mov_b32 s26, exec_lo
	v_cmp_eq_u32_e32 vcc_lo, 0, v15
	s_delay_alu instid0(VALU_DEP_3) | instskip(NEXT) | instid1(VALU_DEP_1)
	v_cndmask_b32_e32 v4, 0, v4, vcc_lo
	v_add_nc_u32_e32 v35, v4, v35
	s_delay_alu instid0(VALU_DEP_1) | instskip(SKIP_2) | instid1(VALU_DEP_2)
	v_cmp_eq_u32_e32 vcc_lo, 0, v35
	v_cndmask_b32_e32 v4, 0, v4, vcc_lo
	v_mad_u64_u32 v[6:7], null, 0xcd9e8d57, v35, 0
	v_add_nc_u32_e32 v36, v4, v36
	v_mad_u64_u32 v[4:5], null, 0xd2511f53, v14, 0
	s_delay_alu instid0(VALU_DEP_3) | instskip(NEXT) | instid1(VALU_DEP_2)
	v_xor3_b32 v7, v7, v8, v15
	v_xor_b32_e32 v5, v5, v9
	s_delay_alu instid0(VALU_DEP_2) | instskip(NEXT) | instid1(VALU_DEP_2)
	v_mad_u64_u32 v[37:38], null, 0xd2511f53, v7, 0
	v_xor_b32_e32 v5, v36, v5
	s_delay_alu instid0(VALU_DEP_1) | instskip(NEXT) | instid1(VALU_DEP_1)
	v_mad_u64_u32 v[12:13], null, 0xcd9e8d57, v5, 0
	v_xor3_b32 v6, v17, v13, v6
	s_delay_alu instid0(VALU_DEP_4) | instskip(NEXT) | instid1(VALU_DEP_2)
	v_xor3_b32 v13, v16, v38, v4
	v_mad_u64_u32 v[4:5], null, 0xd2511f53, v6, 0
	s_delay_alu instid0(VALU_DEP_2) | instskip(NEXT) | instid1(VALU_DEP_2)
	v_mad_u64_u32 v[6:7], null, 0xcd9e8d57, v13, 0
	v_xor3_b32 v5, v19, v5, v37
	s_delay_alu instid0(VALU_DEP_2) | instskip(NEXT) | instid1(VALU_DEP_2)
	v_xor3_b32 v7, v18, v7, v12
	v_mad_u64_u32 v[12:13], null, 0xcd9e8d57, v5, 0
	s_delay_alu instid0(VALU_DEP_2) | instskip(NEXT) | instid1(VALU_DEP_2)
	v_mad_u64_u32 v[37:38], null, 0xd2511f53, v7, 0
	v_xor3_b32 v6, v21, v13, v6
	s_delay_alu instid0(VALU_DEP_2) | instskip(NEXT) | instid1(VALU_DEP_2)
	;; [unrolled: 6-line block ×7, first 2 shown]
	v_xor3_b32 v37, v31, v5, v12
	v_mad_u64_u32 v[5:6], null, 0xcd9e8d57, v7, 0
	s_delay_alu instid0(VALU_DEP_2) | instskip(NEXT) | instid1(VALU_DEP_2)
	v_mad_u64_u32 v[12:13], null, 0xd2511f53, v37, 0
	v_xor3_b32 v4, v6, v4, v25
	s_delay_alu instid0(VALU_DEP_2)
	v_xor3_b32 v6, v13, v38, v34
	v_cmpx_lt_i32_e32 1, v24
	s_xor_b32 s26, exec_lo, s26
	s_cbranch_execnz .LBB3_12
; %bb.10:                               ;   in Loop: Header=BB3_9 Depth=1
	s_and_not1_saveexec_b32 s26, s26
	s_cbranch_execnz .LBB3_17
.LBB3_11:                               ;   in Loop: Header=BB3_9 Depth=1
	s_or_b32 exec_lo, exec_lo, s26
	s_delay_alu instid0(SALU_CYCLE_1)
	s_mov_b32 s39, exec_lo
	v_cmpx_gt_i64_e64 s[20:21], v[10:11]
	s_cbranch_execnz .LBB3_20
	s_branch .LBB3_34
.LBB3_12:                               ;   in Loop: Header=BB3_9 Depth=1
	s_mov_b32 s27, exec_lo
	v_cmpx_lt_i32_e32 2, v24
	s_xor_b32 s27, exec_lo, s27
; %bb.13:                               ;   in Loop: Header=BB3_9 Depth=1
	v_dual_mov_b32 v0, v3 :: v_dual_mov_b32 v1, v4
; %bb.14:                               ;   in Loop: Header=BB3_9 Depth=1
	s_and_not1_saveexec_b32 s27, s27
; %bb.15:                               ;   in Loop: Header=BB3_9 Depth=1
	v_dual_mov_b32 v0, v2 :: v_dual_mov_b32 v1, v3
; %bb.16:                               ;   in Loop: Header=BB3_9 Depth=1
	s_or_b32 exec_lo, exec_lo, s27
	s_and_not1_saveexec_b32 s26, s26
	s_cbranch_execz .LBB3_11
.LBB3_17:                               ;   in Loop: Header=BB3_9 Depth=1
	s_mov_b32 s27, exec_lo
	v_cmpx_eq_u32_e32 1, v24
; %bb.18:                               ;   in Loop: Header=BB3_9 Depth=1
	v_dual_mov_b32 v0, v1 :: v_dual_mov_b32 v1, v2
; %bb.19:                               ;   in Loop: Header=BB3_9 Depth=1
	s_or_b32 exec_lo, exec_lo, s27
	s_delay_alu instid0(SALU_CYCLE_1) | instskip(NEXT) | instid1(SALU_CYCLE_1)
	s_or_b32 exec_lo, exec_lo, s26
	s_mov_b32 s39, exec_lo
	v_cmpx_gt_i64_e64 s[20:21], v[10:11]
	s_cbranch_execz .LBB3_34
.LBB3_20:                               ;   in Loop: Header=BB3_9 Depth=1
	s_and_not1_b32 vcc_lo, exec_lo, s11
	s_cbranch_vccnz .LBB3_26
; %bb.21:                               ;   in Loop: Header=BB3_9 Depth=1
	v_mov_b32_e32 v2, 0
	s_and_not1_b32 vcc_lo, exec_lo, s34
	s_cbranch_vccnz .LBB3_30
; %bb.22:                               ;   in Loop: Header=BB3_9 Depth=1
	s_and_not1_b32 vcc_lo, exec_lo, s36
	s_mov_b32 s26, 0
	s_cbranch_vccnz .LBB3_27
; %bb.23:                               ;   in Loop: Header=BB3_9 Depth=1
	v_dual_mov_b32 v2, 0 :: v_dual_mov_b32 v3, v10
	s_mov_b32 s40, 0
	s_mov_b64 s[26:27], s[22:23]
	s_mov_b64 s[28:29], s[0:1]
.LBB3_24:                               ;   Parent Loop BB3_9 Depth=1
                                        ; =>  This Inner Loop Header: Depth=2
	s_clause 0x1
	s_load_b256 s[44:51], s[26:27], 0x4
	s_load_b128 s[52:55], s[26:27], 0x24
	s_load_b128 s[56:59], s[28:29], 0x0
	s_add_u32 s26, s26, 48
	s_addc_u32 s27, s27, 0
	s_add_i32 s40, s40, 4
	s_add_u32 s28, s28, 16
	s_addc_u32 s29, s29, 0
	s_cmp_lg_u32 s37, s40
	s_waitcnt lgkmcnt(0)
	v_mul_hi_u32 v7, s45, v3
	s_delay_alu instid0(VALU_DEP_1) | instskip(NEXT) | instid1(VALU_DEP_1)
	v_add_nc_u32_e32 v7, v3, v7
	v_lshrrev_b32_e32 v7, s46, v7
	s_delay_alu instid0(VALU_DEP_1) | instskip(SKIP_1) | instid1(VALU_DEP_2)
	v_mul_hi_u32 v13, s48, v7
	v_mul_lo_u32 v39, v7, s44
	v_add_nc_u32_e32 v13, v7, v13
	s_delay_alu instid0(VALU_DEP_2) | instskip(NEXT) | instid1(VALU_DEP_2)
	v_sub_nc_u32_e32 v39, v3, v39
	v_lshrrev_b32_e32 v13, s49, v13
	s_delay_alu instid0(VALU_DEP_2) | instskip(NEXT) | instid1(VALU_DEP_2)
	v_mul_lo_u32 v39, v39, s56
	v_mul_hi_u32 v37, s51, v13
	v_mul_lo_u32 v40, v13, s47
	s_delay_alu instid0(VALU_DEP_2) | instskip(NEXT) | instid1(VALU_DEP_2)
	v_add_nc_u32_e32 v37, v13, v37
	v_sub_nc_u32_e32 v7, v7, v40
	s_delay_alu instid0(VALU_DEP_2) | instskip(NEXT) | instid1(VALU_DEP_2)
	v_lshrrev_b32_e32 v37, s52, v37
	v_mul_lo_u32 v7, v7, s57
	s_delay_alu instid0(VALU_DEP_2) | instskip(NEXT) | instid1(VALU_DEP_2)
	v_mul_hi_u32 v38, s54, v37
	v_add3_u32 v2, v39, v2, v7
	s_delay_alu instid0(VALU_DEP_2) | instskip(NEXT) | instid1(VALU_DEP_1)
	v_add_nc_u32_e32 v38, v37, v38
	v_lshrrev_b32_e32 v3, s55, v38
	v_mul_lo_u32 v38, v37, s50
	s_delay_alu instid0(VALU_DEP_2) | instskip(NEXT) | instid1(VALU_DEP_2)
	v_mul_lo_u32 v41, v3, s53
	v_sub_nc_u32_e32 v13, v13, v38
	s_delay_alu instid0(VALU_DEP_2) | instskip(NEXT) | instid1(VALU_DEP_2)
	v_sub_nc_u32_e32 v37, v37, v41
	v_mul_lo_u32 v13, v13, s58
	s_delay_alu instid0(VALU_DEP_2) | instskip(NEXT) | instid1(VALU_DEP_1)
	v_mul_lo_u32 v37, v37, s59
	v_add3_u32 v2, v13, v2, v37
	s_cbranch_scc1 .LBB3_24
; %bb.25:                               ;   in Loop: Header=BB3_9 Depth=1
	s_mov_b32 s26, s37
	s_and_not1_b32 vcc_lo, exec_lo, s38
	s_cbranch_vccz .LBB3_28
	s_branch .LBB3_30
.LBB3_26:                               ;   in Loop: Header=BB3_9 Depth=1
                                        ; implicit-def: $vgpr2
	s_branch .LBB3_31
.LBB3_27:                               ;   in Loop: Header=BB3_9 Depth=1
	v_mov_b32_e32 v3, v10
	s_and_not1_b32 vcc_lo, exec_lo, s38
	s_cbranch_vccnz .LBB3_30
.LBB3_28:                               ;   in Loop: Header=BB3_9 Depth=1
	s_lshl_b32 s27, s26, 2
	s_mul_i32 s28, s26, 12
	s_add_u32 s26, s0, s27
	s_addc_u32 s27, s1, 0
	s_add_u32 s28, s22, s28
	s_addc_u32 s29, s23, 0
	s_mov_b32 s40, s35
	.p2align	6
.LBB3_29:                               ;   Parent Loop BB3_9 Depth=1
                                        ; =>  This Inner Loop Header: Depth=2
	s_clause 0x1
	s_load_b64 s[42:43], s[28:29], 0x4
	s_load_b32 s41, s[28:29], 0xc
	s_add_u32 s28, s28, 12
	s_addc_u32 s29, s29, 0
	s_waitcnt lgkmcnt(0)
	v_mul_hi_u32 v7, s43, v3
	s_load_b32 s43, s[26:27], 0x0
	s_add_u32 s26, s26, 4
	s_addc_u32 s27, s27, 0
	s_add_i32 s40, s40, -1
	s_delay_alu instid0(SALU_CYCLE_1) | instskip(NEXT) | instid1(VALU_DEP_1)
	s_cmp_lg_u32 s40, 0
	v_add_nc_u32_e32 v7, v3, v7
	s_delay_alu instid0(VALU_DEP_1) | instskip(NEXT) | instid1(VALU_DEP_1)
	v_lshrrev_b32_e32 v7, s41, v7
	v_mul_lo_u32 v13, v7, s42
	s_delay_alu instid0(VALU_DEP_1) | instskip(SKIP_1) | instid1(VALU_DEP_1)
	v_sub_nc_u32_e32 v3, v3, v13
	s_waitcnt lgkmcnt(0)
	v_mad_u64_u32 v[37:38], null, v3, s43, v[2:3]
	s_delay_alu instid0(VALU_DEP_1)
	v_dual_mov_b32 v3, v7 :: v_dual_mov_b32 v2, v37
	s_cbranch_scc1 .LBB3_29
.LBB3_30:                               ;   in Loop: Header=BB3_9 Depth=1
	s_cbranch_execnz .LBB3_33
.LBB3_31:                               ;   in Loop: Header=BB3_9 Depth=1
	v_mul_hi_u32 v2, v10, s6
	s_and_not1_b32 vcc_lo, exec_lo, s4
	s_delay_alu instid0(VALU_DEP_1) | instskip(NEXT) | instid1(VALU_DEP_1)
	v_add_nc_u32_e32 v2, v2, v10
	v_lshrrev_b32_e32 v3, s7, v2
	s_delay_alu instid0(VALU_DEP_1) | instskip(NEXT) | instid1(VALU_DEP_1)
	v_mul_lo_u32 v2, v3, s5
	v_sub_nc_u32_e32 v2, v10, v2
	s_delay_alu instid0(VALU_DEP_1)
	v_mul_lo_u32 v2, v2, s24
	s_cbranch_vccnz .LBB3_33
; %bb.32:                               ;   in Loop: Header=BB3_9 Depth=1
	v_mul_hi_u32 v7, s9, v3
	s_delay_alu instid0(VALU_DEP_1) | instskip(NEXT) | instid1(VALU_DEP_1)
	v_add_nc_u32_e32 v7, v3, v7
	v_lshrrev_b32_e32 v7, s10, v7
	s_delay_alu instid0(VALU_DEP_1) | instskip(NEXT) | instid1(VALU_DEP_1)
	v_mul_lo_u32 v7, v7, s8
	v_sub_nc_u32_e32 v3, v3, v7
	s_delay_alu instid0(VALU_DEP_1) | instskip(NEXT) | instid1(VALU_DEP_1)
	v_mad_u64_u32 v[37:38], null, v3, s25, v[2:3]
	v_mov_b32_e32 v2, v37
.LBB3_33:                               ;   in Loop: Header=BB3_9 Depth=1
	v_cvt_f32_u32_e32 v0, v0
	s_delay_alu instid0(VALU_DEP_1) | instskip(NEXT) | instid1(VALU_DEP_1)
	v_fmaak_f32 v0, 0x2f800000, v0, 0x2f800000
	v_cvt_f64_f32_e32 v[37:38], v0
	s_delay_alu instid0(VALU_DEP_1) | instskip(NEXT) | instid1(VALU_DEP_1)
	v_fma_f64 v[37:38], s[14:15], v[37:38], s[16:17]
	v_cmp_eq_f64_e32 vcc_lo, s[18:19], v[37:38]
	v_cndmask_b32_e64 v38, v38, s17, vcc_lo
	v_cndmask_b32_e64 v37, v37, s16, vcc_lo
	global_store_b64 v2, v[37:38], s[12:13]
.LBB3_34:                               ;   in Loop: Header=BB3_9 Depth=1
	s_or_b32 exec_lo, exec_lo, s39
	v_add_co_u32 v2, vcc_lo, v10, s30
	v_add_co_ci_u32_e32 v3, vcc_lo, 0, v11, vcc_lo
	s_mov_b32 s39, exec_lo
	s_delay_alu instid0(VALU_DEP_1)
	v_cmpx_gt_i64_e64 s[20:21], v[2:3]
	s_cbranch_execz .LBB3_8
; %bb.35:                               ;   in Loop: Header=BB3_9 Depth=1
	s_and_not1_b32 vcc_lo, exec_lo, s11
	s_cbranch_vccnz .LBB3_41
; %bb.36:                               ;   in Loop: Header=BB3_9 Depth=1
	v_mov_b32_e32 v0, 0
	s_and_not1_b32 vcc_lo, exec_lo, s34
	s_cbranch_vccnz .LBB3_45
; %bb.37:                               ;   in Loop: Header=BB3_9 Depth=1
	s_and_not1_b32 vcc_lo, exec_lo, s36
	s_mov_b32 s26, 0
	s_cbranch_vccnz .LBB3_42
; %bb.38:                               ;   in Loop: Header=BB3_9 Depth=1
	v_dual_mov_b32 v0, 0 :: v_dual_mov_b32 v3, v2
	s_mov_b32 s40, 0
	s_mov_b64 s[26:27], s[22:23]
	s_mov_b64 s[28:29], s[0:1]
.LBB3_39:                               ;   Parent Loop BB3_9 Depth=1
                                        ; =>  This Inner Loop Header: Depth=2
	s_clause 0x1
	s_load_b256 s[44:51], s[26:27], 0x4
	s_load_b128 s[52:55], s[26:27], 0x24
	s_load_b128 s[56:59], s[28:29], 0x0
	s_add_u32 s26, s26, 48
	s_addc_u32 s27, s27, 0
	s_add_i32 s40, s40, 4
	s_add_u32 s28, s28, 16
	s_addc_u32 s29, s29, 0
	s_cmp_eq_u32 s37, s40
	s_waitcnt lgkmcnt(0)
	v_mul_hi_u32 v7, s45, v3
	s_delay_alu instid0(VALU_DEP_1) | instskip(NEXT) | instid1(VALU_DEP_1)
	v_add_nc_u32_e32 v7, v3, v7
	v_lshrrev_b32_e32 v7, s46, v7
	s_delay_alu instid0(VALU_DEP_1) | instskip(SKIP_1) | instid1(VALU_DEP_2)
	v_mul_hi_u32 v13, s48, v7
	v_mul_lo_u32 v39, v7, s44
	v_add_nc_u32_e32 v13, v7, v13
	s_delay_alu instid0(VALU_DEP_2) | instskip(NEXT) | instid1(VALU_DEP_2)
	v_sub_nc_u32_e32 v39, v3, v39
	v_lshrrev_b32_e32 v13, s49, v13
	s_delay_alu instid0(VALU_DEP_2) | instskip(NEXT) | instid1(VALU_DEP_2)
	v_mul_lo_u32 v39, v39, s56
	v_mul_hi_u32 v37, s51, v13
	v_mul_lo_u32 v40, v13, s47
	s_delay_alu instid0(VALU_DEP_2) | instskip(NEXT) | instid1(VALU_DEP_2)
	v_add_nc_u32_e32 v37, v13, v37
	v_sub_nc_u32_e32 v7, v7, v40
	s_delay_alu instid0(VALU_DEP_2) | instskip(NEXT) | instid1(VALU_DEP_2)
	v_lshrrev_b32_e32 v37, s52, v37
	v_mul_lo_u32 v7, v7, s57
	s_delay_alu instid0(VALU_DEP_2) | instskip(NEXT) | instid1(VALU_DEP_2)
	v_mul_hi_u32 v38, s54, v37
	v_add3_u32 v0, v39, v0, v7
	s_delay_alu instid0(VALU_DEP_2) | instskip(NEXT) | instid1(VALU_DEP_1)
	v_add_nc_u32_e32 v38, v37, v38
	v_lshrrev_b32_e32 v3, s55, v38
	v_mul_lo_u32 v38, v37, s50
	s_delay_alu instid0(VALU_DEP_2) | instskip(NEXT) | instid1(VALU_DEP_2)
	v_mul_lo_u32 v41, v3, s53
	v_sub_nc_u32_e32 v13, v13, v38
	s_delay_alu instid0(VALU_DEP_2) | instskip(NEXT) | instid1(VALU_DEP_2)
	v_sub_nc_u32_e32 v37, v37, v41
	v_mul_lo_u32 v13, v13, s58
	s_delay_alu instid0(VALU_DEP_2) | instskip(NEXT) | instid1(VALU_DEP_1)
	v_mul_lo_u32 v37, v37, s59
	v_add3_u32 v0, v13, v0, v37
	s_cbranch_scc0 .LBB3_39
; %bb.40:                               ;   in Loop: Header=BB3_9 Depth=1
	s_mov_b32 s26, s37
	s_and_not1_b32 vcc_lo, exec_lo, s38
	s_cbranch_vccz .LBB3_43
	s_branch .LBB3_45
.LBB3_41:                               ;   in Loop: Header=BB3_9 Depth=1
                                        ; implicit-def: $vgpr0
	s_branch .LBB3_46
.LBB3_42:                               ;   in Loop: Header=BB3_9 Depth=1
	v_mov_b32_e32 v3, v2
	s_and_not1_b32 vcc_lo, exec_lo, s38
	s_cbranch_vccnz .LBB3_45
.LBB3_43:                               ;   in Loop: Header=BB3_9 Depth=1
	s_lshl_b32 s27, s26, 2
	s_mul_i32 s28, s26, 12
	s_add_u32 s26, s0, s27
	s_addc_u32 s27, s1, 0
	s_add_u32 s28, s22, s28
	s_addc_u32 s29, s23, 0
	s_mov_b32 s40, s35
	.p2align	6
.LBB3_44:                               ;   Parent Loop BB3_9 Depth=1
                                        ; =>  This Inner Loop Header: Depth=2
	s_clause 0x1
	s_load_b64 s[42:43], s[28:29], 0x4
	s_load_b32 s41, s[28:29], 0xc
	s_add_u32 s28, s28, 12
	s_addc_u32 s29, s29, 0
	s_waitcnt lgkmcnt(0)
	v_mul_hi_u32 v7, s43, v3
	s_load_b32 s43, s[26:27], 0x0
	s_add_u32 s26, s26, 4
	s_addc_u32 s27, s27, 0
	s_add_i32 s40, s40, -1
	s_delay_alu instid0(SALU_CYCLE_1) | instskip(NEXT) | instid1(VALU_DEP_1)
	s_cmp_lg_u32 s40, 0
	v_add_nc_u32_e32 v7, v3, v7
	s_delay_alu instid0(VALU_DEP_1) | instskip(NEXT) | instid1(VALU_DEP_1)
	v_lshrrev_b32_e32 v7, s41, v7
	v_mul_lo_u32 v13, v7, s42
	s_delay_alu instid0(VALU_DEP_1) | instskip(SKIP_1) | instid1(VALU_DEP_1)
	v_sub_nc_u32_e32 v3, v3, v13
	s_waitcnt lgkmcnt(0)
	v_mad_u64_u32 v[37:38], null, v3, s43, v[0:1]
	s_delay_alu instid0(VALU_DEP_1)
	v_dual_mov_b32 v3, v7 :: v_dual_mov_b32 v0, v37
	s_cbranch_scc1 .LBB3_44
.LBB3_45:                               ;   in Loop: Header=BB3_9 Depth=1
	s_cbranch_execnz .LBB3_7
.LBB3_46:                               ;   in Loop: Header=BB3_9 Depth=1
	v_mul_hi_u32 v0, v2, s6
	s_and_not1_b32 vcc_lo, exec_lo, s4
	s_delay_alu instid0(VALU_DEP_1) | instskip(NEXT) | instid1(VALU_DEP_1)
	v_add_nc_u32_e32 v0, v0, v2
	v_lshrrev_b32_e32 v3, s7, v0
	s_delay_alu instid0(VALU_DEP_1) | instskip(NEXT) | instid1(VALU_DEP_1)
	v_mul_lo_u32 v0, v3, s5
	v_sub_nc_u32_e32 v0, v2, v0
	s_delay_alu instid0(VALU_DEP_1)
	v_mul_lo_u32 v0, v0, s24
	s_cbranch_vccnz .LBB3_7
; %bb.47:                               ;   in Loop: Header=BB3_9 Depth=1
	v_mul_hi_u32 v2, s9, v3
	s_delay_alu instid0(VALU_DEP_1) | instskip(NEXT) | instid1(VALU_DEP_1)
	v_add_nc_u32_e32 v2, v3, v2
	v_lshrrev_b32_e32 v2, s10, v2
	s_delay_alu instid0(VALU_DEP_1) | instskip(NEXT) | instid1(VALU_DEP_1)
	v_mul_lo_u32 v2, v2, s8
	v_sub_nc_u32_e32 v7, v3, v2
	s_delay_alu instid0(VALU_DEP_1) | instskip(NEXT) | instid1(VALU_DEP_1)
	v_mad_u64_u32 v[2:3], null, v7, s25, v[0:1]
	v_mov_b32_e32 v0, v2
	s_branch .LBB3_7
.LBB3_48:
	s_endpgm
.LBB3_49:
                                        ; implicit-def: $sgpr2_sgpr3
	s_branch .LBB3_4
	.section	.rodata,"a",@progbits
	.p2align	6, 0x0
	.amdhsa_kernel _ZN2at6native12_GLOBAL__N_143distribution_elementwise_grid_stride_kernelIdLi2EZNS0_9templates4cuda21uniform_and_transformIddPNS_17CUDAGeneratorImplEZZZNS4_14uniform_kernelIS7_EEvRNS_18TensorIteratorBaseEddT_ENKUlvE_clEvENKUlvE_clEvEUldE_EEvSA_T1_T2_EUlP25hiprandStatePhilox4_32_10E0_ZNS1_27distribution_nullary_kernelIdd15HIP_vector_typeIfLj4EES7_SJ_SE_EEvSA_SG_RKT3_T4_EUlidE0_EEvlNS_15PhiloxCudaStateESF_SG_
		.amdhsa_group_segment_fixed_size 0
		.amdhsa_private_segment_fixed_size 0
		.amdhsa_kernarg_size 600
		.amdhsa_user_sgpr_count 15
		.amdhsa_user_sgpr_dispatch_ptr 0
		.amdhsa_user_sgpr_queue_ptr 0
		.amdhsa_user_sgpr_kernarg_segment_ptr 1
		.amdhsa_user_sgpr_dispatch_id 0
		.amdhsa_user_sgpr_private_segment_size 0
		.amdhsa_wavefront_size32 1
		.amdhsa_uses_dynamic_stack 0
		.amdhsa_enable_private_segment 0
		.amdhsa_system_sgpr_workgroup_id_x 1
		.amdhsa_system_sgpr_workgroup_id_y 0
		.amdhsa_system_sgpr_workgroup_id_z 0
		.amdhsa_system_sgpr_workgroup_info 0
		.amdhsa_system_vgpr_workitem_id 0
		.amdhsa_next_free_vgpr 42
		.amdhsa_next_free_sgpr 60
		.amdhsa_reserve_vcc 1
		.amdhsa_float_round_mode_32 0
		.amdhsa_float_round_mode_16_64 0
		.amdhsa_float_denorm_mode_32 3
		.amdhsa_float_denorm_mode_16_64 3
		.amdhsa_dx10_clamp 1
		.amdhsa_ieee_mode 1
		.amdhsa_fp16_overflow 0
		.amdhsa_workgroup_processor_mode 1
		.amdhsa_memory_ordered 1
		.amdhsa_forward_progress 0
		.amdhsa_shared_vgpr_count 0
		.amdhsa_exception_fp_ieee_invalid_op 0
		.amdhsa_exception_fp_denorm_src 0
		.amdhsa_exception_fp_ieee_div_zero 0
		.amdhsa_exception_fp_ieee_overflow 0
		.amdhsa_exception_fp_ieee_underflow 0
		.amdhsa_exception_fp_ieee_inexact 0
		.amdhsa_exception_int_div_zero 0
	.end_amdhsa_kernel
	.section	.text._ZN2at6native12_GLOBAL__N_143distribution_elementwise_grid_stride_kernelIdLi2EZNS0_9templates4cuda21uniform_and_transformIddPNS_17CUDAGeneratorImplEZZZNS4_14uniform_kernelIS7_EEvRNS_18TensorIteratorBaseEddT_ENKUlvE_clEvENKUlvE_clEvEUldE_EEvSA_T1_T2_EUlP25hiprandStatePhilox4_32_10E0_ZNS1_27distribution_nullary_kernelIdd15HIP_vector_typeIfLj4EES7_SJ_SE_EEvSA_SG_RKT3_T4_EUlidE0_EEvlNS_15PhiloxCudaStateESF_SG_,"axG",@progbits,_ZN2at6native12_GLOBAL__N_143distribution_elementwise_grid_stride_kernelIdLi2EZNS0_9templates4cuda21uniform_and_transformIddPNS_17CUDAGeneratorImplEZZZNS4_14uniform_kernelIS7_EEvRNS_18TensorIteratorBaseEddT_ENKUlvE_clEvENKUlvE_clEvEUldE_EEvSA_T1_T2_EUlP25hiprandStatePhilox4_32_10E0_ZNS1_27distribution_nullary_kernelIdd15HIP_vector_typeIfLj4EES7_SJ_SE_EEvSA_SG_RKT3_T4_EUlidE0_EEvlNS_15PhiloxCudaStateESF_SG_,comdat
.Lfunc_end3:
	.size	_ZN2at6native12_GLOBAL__N_143distribution_elementwise_grid_stride_kernelIdLi2EZNS0_9templates4cuda21uniform_and_transformIddPNS_17CUDAGeneratorImplEZZZNS4_14uniform_kernelIS7_EEvRNS_18TensorIteratorBaseEddT_ENKUlvE_clEvENKUlvE_clEvEUldE_EEvSA_T1_T2_EUlP25hiprandStatePhilox4_32_10E0_ZNS1_27distribution_nullary_kernelIdd15HIP_vector_typeIfLj4EES7_SJ_SE_EEvSA_SG_RKT3_T4_EUlidE0_EEvlNS_15PhiloxCudaStateESF_SG_, .Lfunc_end3-_ZN2at6native12_GLOBAL__N_143distribution_elementwise_grid_stride_kernelIdLi2EZNS0_9templates4cuda21uniform_and_transformIddPNS_17CUDAGeneratorImplEZZZNS4_14uniform_kernelIS7_EEvRNS_18TensorIteratorBaseEddT_ENKUlvE_clEvENKUlvE_clEvEUldE_EEvSA_T1_T2_EUlP25hiprandStatePhilox4_32_10E0_ZNS1_27distribution_nullary_kernelIdd15HIP_vector_typeIfLj4EES7_SJ_SE_EEvSA_SG_RKT3_T4_EUlidE0_EEvlNS_15PhiloxCudaStateESF_SG_
                                        ; -- End function
	.section	.AMDGPU.csdata,"",@progbits
; Kernel info:
; codeLenInByte = 3872
; NumSgprs: 62
; NumVgprs: 42
; ScratchSize: 0
; MemoryBound: 0
; FloatMode: 240
; IeeeMode: 1
; LDSByteSize: 0 bytes/workgroup (compile time only)
; SGPRBlocks: 7
; VGPRBlocks: 5
; NumSGPRsForWavesPerEU: 62
; NumVGPRsForWavesPerEU: 42
; Occupancy: 16
; WaveLimiterHint : 1
; COMPUTE_PGM_RSRC2:SCRATCH_EN: 0
; COMPUTE_PGM_RSRC2:USER_SGPR: 15
; COMPUTE_PGM_RSRC2:TRAP_HANDLER: 0
; COMPUTE_PGM_RSRC2:TGID_X_EN: 1
; COMPUTE_PGM_RSRC2:TGID_Y_EN: 0
; COMPUTE_PGM_RSRC2:TGID_Z_EN: 0
; COMPUTE_PGM_RSRC2:TIDIG_COMP_CNT: 0
	.section	.text._ZN2at6native12_GLOBAL__N_143distribution_elementwise_grid_stride_kernelIfLi4EZNS0_9templates4cuda21uniform_and_transformIffPNS_17CUDAGeneratorImplEZZZNS4_14uniform_kernelIS7_EEvRNS_18TensorIteratorBaseEddT_ENKUlvE_clEvENKUlvE0_clEvEUlfE_EEvSA_T1_T2_EUlP25hiprandStatePhilox4_32_10E_ZNS1_27distribution_nullary_kernelIff15HIP_vector_typeIdLj2EES7_SJ_SE_EEvSA_SG_RKT3_T4_EUlifE_EEvlNS_15PhiloxCudaStateESF_SG_,"axG",@progbits,_ZN2at6native12_GLOBAL__N_143distribution_elementwise_grid_stride_kernelIfLi4EZNS0_9templates4cuda21uniform_and_transformIffPNS_17CUDAGeneratorImplEZZZNS4_14uniform_kernelIS7_EEvRNS_18TensorIteratorBaseEddT_ENKUlvE_clEvENKUlvE0_clEvEUlfE_EEvSA_T1_T2_EUlP25hiprandStatePhilox4_32_10E_ZNS1_27distribution_nullary_kernelIff15HIP_vector_typeIdLj2EES7_SJ_SE_EEvSA_SG_RKT3_T4_EUlifE_EEvlNS_15PhiloxCudaStateESF_SG_,comdat
	.globl	_ZN2at6native12_GLOBAL__N_143distribution_elementwise_grid_stride_kernelIfLi4EZNS0_9templates4cuda21uniform_and_transformIffPNS_17CUDAGeneratorImplEZZZNS4_14uniform_kernelIS7_EEvRNS_18TensorIteratorBaseEddT_ENKUlvE_clEvENKUlvE0_clEvEUlfE_EEvSA_T1_T2_EUlP25hiprandStatePhilox4_32_10E_ZNS1_27distribution_nullary_kernelIff15HIP_vector_typeIdLj2EES7_SJ_SE_EEvSA_SG_RKT3_T4_EUlifE_EEvlNS_15PhiloxCudaStateESF_SG_ ; -- Begin function _ZN2at6native12_GLOBAL__N_143distribution_elementwise_grid_stride_kernelIfLi4EZNS0_9templates4cuda21uniform_and_transformIffPNS_17CUDAGeneratorImplEZZZNS4_14uniform_kernelIS7_EEvRNS_18TensorIteratorBaseEddT_ENKUlvE_clEvENKUlvE0_clEvEUlfE_EEvSA_T1_T2_EUlP25hiprandStatePhilox4_32_10E_ZNS1_27distribution_nullary_kernelIff15HIP_vector_typeIdLj2EES7_SJ_SE_EEvSA_SG_RKT3_T4_EUlifE_EEvlNS_15PhiloxCudaStateESF_SG_
	.p2align	8
	.type	_ZN2at6native12_GLOBAL__N_143distribution_elementwise_grid_stride_kernelIfLi4EZNS0_9templates4cuda21uniform_and_transformIffPNS_17CUDAGeneratorImplEZZZNS4_14uniform_kernelIS7_EEvRNS_18TensorIteratorBaseEddT_ENKUlvE_clEvENKUlvE0_clEvEUlfE_EEvSA_T1_T2_EUlP25hiprandStatePhilox4_32_10E_ZNS1_27distribution_nullary_kernelIff15HIP_vector_typeIdLj2EES7_SJ_SE_EEvSA_SG_RKT3_T4_EUlifE_EEvlNS_15PhiloxCudaStateESF_SG_,@function
_ZN2at6native12_GLOBAL__N_143distribution_elementwise_grid_stride_kernelIfLi4EZNS0_9templates4cuda21uniform_and_transformIffPNS_17CUDAGeneratorImplEZZZNS4_14uniform_kernelIS7_EEvRNS_18TensorIteratorBaseEddT_ENKUlvE_clEvENKUlvE0_clEvEUlfE_EEvSA_T1_T2_EUlP25hiprandStatePhilox4_32_10E_ZNS1_27distribution_nullary_kernelIff15HIP_vector_typeIdLj2EES7_SJ_SE_EEvSA_SG_RKT3_T4_EUlifE_EEvlNS_15PhiloxCudaStateESF_SG_: ; @_ZN2at6native12_GLOBAL__N_143distribution_elementwise_grid_stride_kernelIfLi4EZNS0_9templates4cuda21uniform_and_transformIffPNS_17CUDAGeneratorImplEZZZNS4_14uniform_kernelIS7_EEvRNS_18TensorIteratorBaseEddT_ENKUlvE_clEvENKUlvE0_clEvEUlfE_EEvSA_T1_T2_EUlP25hiprandStatePhilox4_32_10E_ZNS1_27distribution_nullary_kernelIff15HIP_vector_typeIdLj2EES7_SJ_SE_EEvSA_SG_RKT3_T4_EUlifE_EEvlNS_15PhiloxCudaStateESF_SG_
; %bb.0:
	s_clause 0x2
	s_load_b64 s[8:9], s[0:1], 0x10
	s_load_b128 s[4:7], s[0:1], 0x0
	s_load_b32 s2, s[0:1], 0x20
	s_waitcnt lgkmcnt(0)
	v_dual_mov_b32 v2, s8 :: v_dual_mov_b32 v3, s9
	v_dual_mov_b32 v12, s7 :: v_dual_mov_b32 v11, s6
	s_bitcmp0_b32 s2, 0
	s_mov_b32 s2, 0
	s_cbranch_scc1 .LBB4_2
; %bb.1:
	v_dual_mov_b32 v1, s8 :: v_dual_mov_b32 v2, s9
	v_dual_mov_b32 v4, s6 :: v_dual_mov_b32 v5, s7
	s_load_b64 s[6:7], s[0:1], 0x18
	flat_load_b64 v[2:3], v[1:2]
	flat_load_b64 v[11:12], v[4:5]
	s_waitcnt vmcnt(1) lgkmcnt(0)
	v_add_co_u32 v2, vcc_lo, v2, s6
	v_add_co_ci_u32_e32 v3, vcc_lo, s7, v3, vcc_lo
.LBB4_2:
	s_clause 0x1
	s_load_b32 s3, s[0:1], 0x54
	s_load_b32 s13, s[0:1], 0x48
	s_waitcnt lgkmcnt(0)
	s_and_b32 s12, s3, 0xffff
	s_add_u32 s6, s4, -1
	s_mul_i32 s10, s13, s12
	s_addc_u32 s3, s5, -1
	s_lshl_b32 s11, s10, 2
	s_cmp_lg_u64 s[2:3], 0
	s_cbranch_scc0 .LBB4_23
; %bb.3:
	v_cvt_f32_ubyte0_e32 v1, 0
	v_cvt_f32_u32_e32 v4, s11
	s_sub_u32 s8, 0, s11
	s_subb_u32 s9, 0, 0
	s_delay_alu instid0(VALU_DEP_1) | instskip(NEXT) | instid1(VALU_DEP_1)
	v_fmamk_f32 v1, v1, 0x4f800000, v4
	v_rcp_f32_e32 v1, v1
	s_waitcnt_depctr 0xfff
	v_mul_f32_e32 v1, 0x5f7ffffc, v1
	s_delay_alu instid0(VALU_DEP_1) | instskip(NEXT) | instid1(VALU_DEP_1)
	v_mul_f32_e32 v4, 0x2f800000, v1
	v_trunc_f32_e32 v4, v4
	s_delay_alu instid0(VALU_DEP_1) | instskip(SKIP_1) | instid1(VALU_DEP_2)
	v_fmamk_f32 v1, v4, 0xcf800000, v1
	v_cvt_u32_f32_e32 v4, v4
	v_cvt_u32_f32_e32 v1, v1
	s_delay_alu instid0(VALU_DEP_2) | instskip(NEXT) | instid1(VALU_DEP_2)
	v_readfirstlane_b32 s2, v4
	v_readfirstlane_b32 s7, v1
	s_delay_alu instid0(VALU_DEP_2) | instskip(NEXT) | instid1(VALU_DEP_1)
	s_mul_i32 s14, s8, s2
	s_mul_hi_u32 s17, s8, s7
	s_mul_i32 s16, s9, s7
	s_add_i32 s14, s17, s14
	s_mul_i32 s18, s8, s7
	s_add_i32 s14, s14, s16
	s_mul_hi_u32 s17, s7, s18
	s_mul_hi_u32 s19, s2, s18
	s_mul_i32 s16, s2, s18
	s_mul_hi_u32 s18, s7, s14
	s_mul_i32 s7, s7, s14
	s_mul_hi_u32 s20, s2, s14
	s_add_u32 s7, s17, s7
	s_addc_u32 s17, 0, s18
	s_add_u32 s7, s7, s16
	s_mul_i32 s14, s2, s14
	s_addc_u32 s7, s17, s19
	s_addc_u32 s16, s20, 0
	s_add_u32 s7, s7, s14
	s_addc_u32 s14, 0, s16
	v_add_co_u32 v1, s7, v1, s7
	s_delay_alu instid0(VALU_DEP_1) | instskip(SKIP_1) | instid1(VALU_DEP_1)
	s_cmp_lg_u32 s7, 0
	s_addc_u32 s2, s2, s14
	v_readfirstlane_b32 s7, v1
	s_mul_i32 s14, s8, s2
	s_delay_alu instid0(VALU_DEP_1)
	s_mul_hi_u32 s16, s8, s7
	s_mul_i32 s9, s9, s7
	s_add_i32 s14, s16, s14
	s_mul_i32 s8, s8, s7
	s_add_i32 s14, s14, s9
	s_mul_hi_u32 s16, s2, s8
	s_mul_i32 s17, s2, s8
	s_mul_hi_u32 s8, s7, s8
	s_mul_hi_u32 s18, s7, s14
	s_mul_i32 s7, s7, s14
	s_mul_hi_u32 s9, s2, s14
	s_add_u32 s7, s8, s7
	s_addc_u32 s8, 0, s18
	s_add_u32 s7, s7, s17
	s_mul_i32 s14, s2, s14
	s_addc_u32 s7, s8, s16
	s_addc_u32 s8, s9, 0
	s_add_u32 s7, s7, s14
	s_addc_u32 s8, 0, s8
	v_add_co_u32 v1, s7, v1, s7
	s_delay_alu instid0(VALU_DEP_1) | instskip(SKIP_2) | instid1(VALU_DEP_1)
	s_cmp_lg_u32 s7, 0
	s_addc_u32 s7, s2, s8
	s_ashr_i32 s8, s3, 31
	v_readfirstlane_b32 s14, v1
	s_add_u32 s2, s6, s8
	s_mov_b32 s9, s8
	s_addc_u32 s3, s3, s8
	s_delay_alu instid0(SALU_CYCLE_1) | instskip(NEXT) | instid1(SALU_CYCLE_1)
	s_xor_b64 s[2:3], s[2:3], s[8:9]
	s_mul_i32 s17, s2, s7
	s_mul_hi_u32 s18, s2, s14
	s_mul_hi_u32 s16, s2, s7
	;; [unrolled: 1-line block ×3, first 2 shown]
	s_mul_i32 s14, s3, s14
	s_add_u32 s17, s18, s17
	s_addc_u32 s16, 0, s16
	s_mul_hi_u32 s19, s3, s7
	s_add_u32 s14, s17, s14
	s_mul_i32 s7, s3, s7
	s_addc_u32 s14, s16, s20
	s_addc_u32 s16, s19, 0
	s_add_u32 s7, s14, s7
	s_addc_u32 s14, 0, s16
	s_mul_i32 s17, s11, s7
	s_add_u32 s16, s7, 1
	v_sub_co_u32 v1, s2, s2, s17
	s_mul_hi_u32 s17, s11, s7
	s_addc_u32 s18, s14, 0
	s_mul_i32 s19, s11, s14
	s_delay_alu instid0(VALU_DEP_1)
	v_sub_co_u32 v4, s20, v1, s11
	s_add_u32 s21, s7, 2
	s_addc_u32 s22, s14, 0
	s_add_i32 s17, s17, s19
	s_cmp_lg_u32 s2, 0
	v_readfirstlane_b32 s2, v4
	s_subb_u32 s3, s3, s17
	s_cmp_lg_u32 s20, 0
	s_subb_u32 s17, s3, 0
	s_delay_alu instid0(VALU_DEP_1) | instskip(SKIP_4) | instid1(SALU_CYCLE_1)
	s_cmp_ge_u32 s2, s11
	s_cselect_b32 s2, -1, 0
	s_cmp_eq_u32 s17, 0
	v_readfirstlane_b32 s17, v1
	s_cselect_b32 s2, s2, -1
	s_cmp_lg_u32 s2, 0
	s_cselect_b32 s2, s21, s16
	s_cselect_b32 s16, s22, s18
	s_cmp_ge_u32 s17, s11
	s_cselect_b32 s17, -1, 0
	s_cmp_eq_u32 s3, 0
	s_cselect_b32 s3, s17, -1
	s_delay_alu instid0(SALU_CYCLE_1) | instskip(SKIP_2) | instid1(SALU_CYCLE_1)
	s_cmp_lg_u32 s3, 0
	s_cselect_b32 s3, s16, s14
	s_cselect_b32 s2, s2, s7
	s_xor_b64 s[2:3], s[2:3], s[8:9]
	s_delay_alu instid0(SALU_CYCLE_1)
	s_sub_u32 s2, s2, s8
	s_subb_u32 s3, s3, s8
	s_cbranch_execnz .LBB4_5
.LBB4_4:
	v_cvt_f32_u32_e32 v1, s11
	s_sub_i32 s3, 0, s11
	s_delay_alu instid0(VALU_DEP_1) | instskip(SKIP_2) | instid1(VALU_DEP_1)
	v_rcp_iflag_f32_e32 v1, v1
	s_waitcnt_depctr 0xfff
	v_mul_f32_e32 v1, 0x4f7ffffe, v1
	v_cvt_u32_f32_e32 v1, v1
	s_delay_alu instid0(VALU_DEP_1) | instskip(NEXT) | instid1(VALU_DEP_1)
	v_readfirstlane_b32 s2, v1
	s_mul_i32 s3, s3, s2
	s_delay_alu instid0(SALU_CYCLE_1) | instskip(NEXT) | instid1(SALU_CYCLE_1)
	s_mul_hi_u32 s3, s2, s3
	s_add_i32 s2, s2, s3
	s_delay_alu instid0(SALU_CYCLE_1) | instskip(NEXT) | instid1(SALU_CYCLE_1)
	s_mul_hi_u32 s2, s6, s2
	s_mul_i32 s3, s2, s11
	s_delay_alu instid0(SALU_CYCLE_1)
	s_sub_i32 s3, s6, s3
	s_add_i32 s6, s2, 1
	s_sub_i32 s7, s3, s11
	s_cmp_ge_u32 s3, s11
	s_cselect_b32 s2, s6, s2
	s_cselect_b32 s3, s7, s3
	s_add_i32 s6, s2, 1
	s_cmp_ge_u32 s3, s11
	s_mov_b32 s3, 0
	s_cselect_b32 s2, s6, s2
.LBB4_5:
	v_mov_b32_e32 v1, 0
	s_add_u32 s2, s2, 1
	s_addc_u32 s3, s3, 0
	s_mul_hi_u32 s6, s10, s2
	s_mul_i32 s3, s10, s3
	v_mad_u64_u32 v[13:14], null, s12, s15, v[0:1]
	s_mul_hi_u32 s7, s13, s12
	s_add_i32 s3, s6, s3
	s_mul_i32 s7, s7, s2
	s_mul_i32 s2, s10, s2
	s_add_i32 s3, s3, s7
	s_delay_alu instid0(SALU_CYCLE_1)
	s_lshl_b64 s[6:7], s[2:3], 2
	s_mov_b32 s2, exec_lo
	v_cmpx_gt_i64_e64 s[6:7], v[13:14]
	s_cbranch_execz .LBB4_22
; %bb.6:
	v_alignbit_b32 v17, v3, v2, 2
	v_mad_u64_u32 v[6:7], null, 0xcd9e8d57, v13, 0
	v_lshrrev_b32_e32 v18, 2, v3
	s_waitcnt vmcnt(0)
	v_dual_mov_b32 v15, v12 :: v_dual_add_nc_u32 v34, 0x8ff34781, v11
	v_mad_u64_u32 v[4:5], null, 0xd2511f53, v17, 0
	v_add_co_u32 v20, null, 0x9e3779b9, v11
	v_xor3_b32 v3, v11, v7, v18
	s_delay_alu instid0(VALU_DEP_4) | instskip(SKIP_2) | instid1(VALU_DEP_4)
	v_add_co_u32 v19, null, 0xbb67ae85, v15
	v_add_co_u32 v21, null, 0x3c6ef372, v11
	v_xor_b32_e32 v1, v5, v12
	v_mad_u64_u32 v[7:8], null, 0xd2511f53, v3, 0
	v_add_co_u32 v22, null, 0x76cf5d0a, v15
	s_delay_alu instid0(VALU_DEP_3) | instskip(SKIP_2) | instid1(VALU_DEP_3)
	v_xor_b32_e32 v1, v1, v14
	v_add_co_u32 v23, null, 0x32370b8f, v15
	v_add_co_u32 v24, null, 0xdaa66d2b, v11
	v_mad_u64_u32 v[9:10], null, 0xcd9e8d57, v1, 0
	v_xor3_b32 v1, v19, v8, v4
	v_add_co_u32 v25, null, 0x78dde6e4, v11
	v_add_co_u32 v26, null, 0xed9eba14, v15
	s_delay_alu instid0(VALU_DEP_3) | instskip(SKIP_3) | instid1(VALU_DEP_3)
	v_mad_u64_u32 v[3:4], null, 0xcd9e8d57, v1, 0
	v_xor3_b32 v8, v20, v10, v6
	v_add_co_u32 v27, null, 0xa9066899, v15
	v_add_co_u32 v28, null, 0x1715609d, v11
	v_mad_u64_u32 v[5:6], null, 0xd2511f53, v8, 0
	v_xor3_b32 v1, v21, v4, v9
	v_add_co_u32 v29, null, 0xb54cda56, v11
	v_add_co_u32 v30, null, 0x646e171e, v15
	;; [unrolled: 1-line block ×3, first 2 shown]
	v_xor3_b32 v4, v22, v6, v7
	v_mad_u64_u32 v[6:7], null, 0xd2511f53, v1, 0
	v_add_co_u32 v32, null, 0x5384540f, v11
	s_delay_alu instid0(VALU_DEP_3) | instskip(SKIP_1) | instid1(VALU_DEP_4)
	v_mad_u64_u32 v[8:9], null, 0xcd9e8d57, v4, 0
	v_dual_mov_b32 v38, v13 :: v_dual_and_b32 v33, 3, v2
	v_xor3_b32 v1, v23, v7, v5
	s_clause 0x1
	s_load_b64 s[8:9], s[0:1], 0x30
	s_load_b128 s[0:3], s[0:1], 0x38
	v_add_co_u32 v35, null, 0xf1bbcdc8, v11
	s_delay_alu instid0(VALU_DEP_4) | instskip(SKIP_2) | instid1(VALU_DEP_3)
	v_xor3_b32 v5, v24, v9, v3
	v_mad_u64_u32 v[3:4], null, 0xcd9e8d57, v1, 0
	v_add_co_u32 v36, null, 0xdb3d7428, v15
	v_mad_u64_u32 v[9:10], null, 0xd2511f53, v5, 0
	v_add_nc_u32_e32 v37, 0x96a522ad, v12
	v_mov_b32_e32 v41, v14
	v_xor3_b32 v1, v25, v4, v8
	s_delay_alu instid0(VALU_DEP_4) | instskip(NEXT) | instid1(VALU_DEP_2)
	v_xor3_b32 v8, v26, v10, v6
	v_mad_u64_u32 v[4:5], null, 0xd2511f53, v1, 0
	s_delay_alu instid0(VALU_DEP_2) | instskip(NEXT) | instid1(VALU_DEP_2)
	v_mad_u64_u32 v[6:7], null, 0xcd9e8d57, v8, 0
	v_xor3_b32 v1, v27, v5, v9
	s_delay_alu instid0(VALU_DEP_2) | instskip(NEXT) | instid1(VALU_DEP_2)
	v_xor3_b32 v3, v28, v7, v3
	v_mad_u64_u32 v[7:8], null, 0xcd9e8d57, v1, 0
	s_delay_alu instid0(VALU_DEP_2) | instskip(NEXT) | instid1(VALU_DEP_2)
	v_mad_u64_u32 v[9:10], null, 0xd2511f53, v3, 0
	v_xor3_b32 v1, v29, v8, v6
	s_delay_alu instid0(VALU_DEP_2) | instskip(NEXT) | instid1(VALU_DEP_2)
	;; [unrolled: 6-line block ×3, first 2 shown]
	v_xor3_b32 v2, v32, v6, v7
	v_mad_u64_u32 v[6:7], null, 0xcd9e8d57, v1, 0
	v_mad_u64_u32 v[15:16], null, s15, s12, v[0:1]
	s_delay_alu instid0(VALU_DEP_3) | instskip(SKIP_3) | instid1(VALU_DEP_3)
	v_mad_u64_u32 v[8:9], null, 0xd2511f53, v2, 0
	s_add_i32 s15, s15, s13
	s_waitcnt lgkmcnt(0)
	s_mul_i32 s13, s13, s0
	v_xor3_b32 v1, v35, v7, v5
	s_mul_i32 s13, s13, s12
	s_delay_alu instid0(VALU_DEP_3) | instskip(NEXT) | instid1(VALU_DEP_3)
	v_mul_lo_u32 v39, s0, v15
	v_xor3_b32 v7, v36, v9, v3
	s_delay_alu instid0(VALU_DEP_3) | instskip(SKIP_1) | instid1(VALU_DEP_3)
	v_mad_u64_u32 v[3:4], null, s15, s12, v[0:1]
	v_mad_u64_u32 v[4:5], null, 0xd2511f53, v1, 0
	v_mad_u64_u32 v[1:2], null, 0xcd9e8d57, v7, 0
	s_lshl_b32 s12, s13, 2
	s_mov_b32 s13, 0
	s_delay_alu instid0(VALU_DEP_3) | instskip(SKIP_1) | instid1(VALU_DEP_3)
	v_mul_lo_u32 v40, s0, v3
	s_mov_b32 s0, 0
	v_mov_b32_e32 v3, v4
	s_delay_alu instid0(VALU_DEP_3)
	v_xor3_b32 v0, v2, v6, v34
	v_xor3_b32 v2, v5, v8, v37
	s_branch .LBB4_8
.LBB4_7:                                ;   in Loop: Header=BB4_8 Depth=1
	s_or_b32 exec_lo, exec_lo, s14
	v_add_co_u32 v13, vcc_lo, v13, s11
	v_add_co_ci_u32_e32 v14, vcc_lo, 0, v14, vcc_lo
	v_mov_b32_e32 v7, v15
	v_dual_mov_b32 v0, v4 :: v_dual_mov_b32 v1, v5
	s_delay_alu instid0(VALU_DEP_3) | instskip(NEXT) | instid1(VALU_DEP_3)
	v_cmp_le_i64_e32 vcc_lo, s[6:7], v[13:14]
	v_dual_mov_b32 v2, v6 :: v_dual_mov_b32 v3, v7
	s_add_i32 s13, s13, s12
	s_waitcnt_vscnt null, 0x0
	s_barrier
	s_or_b32 s0, vcc_lo, s0
	buffer_gl0_inv
	s_and_not1_b32 exec_lo, exec_lo, s0
	s_cbranch_execz .LBB4_22
.LBB4_8:                                ; =>This Inner Loop Header: Depth=1
	v_add_co_u32 v17, vcc_lo, v17, 1
	s_delay_alu instid0(VALU_DEP_1) | instskip(SKIP_2) | instid1(VALU_DEP_1)
	v_cndmask_b32_e64 v4, 0, 1, vcc_lo
	v_add_co_ci_u32_e32 v18, vcc_lo, 0, v18, vcc_lo
	s_mov_b32 s14, exec_lo
	v_cmp_eq_u32_e32 vcc_lo, 0, v18
	s_delay_alu instid0(VALU_DEP_3) | instskip(NEXT) | instid1(VALU_DEP_1)
	v_cndmask_b32_e32 v4, 0, v4, vcc_lo
	v_add_nc_u32_e32 v38, v4, v38
	s_delay_alu instid0(VALU_DEP_1) | instskip(SKIP_2) | instid1(VALU_DEP_2)
	v_cmp_eq_u32_e32 vcc_lo, 0, v38
	v_mad_u64_u32 v[6:7], null, 0xcd9e8d57, v38, 0
	v_cndmask_b32_e32 v4, 0, v4, vcc_lo
	v_xor3_b32 v9, v7, v11, v18
	s_delay_alu instid0(VALU_DEP_2) | instskip(SKIP_1) | instid1(VALU_DEP_3)
	v_add_nc_u32_e32 v41, v4, v41
	v_mad_u64_u32 v[4:5], null, 0xd2511f53, v17, 0
	v_mad_u64_u32 v[7:8], null, 0xd2511f53, v9, 0
	s_delay_alu instid0(VALU_DEP_2) | instskip(NEXT) | instid1(VALU_DEP_2)
	v_xor_b32_e32 v5, v5, v12
	v_xor3_b32 v8, v19, v8, v4
	s_delay_alu instid0(VALU_DEP_2) | instskip(NEXT) | instid1(VALU_DEP_1)
	v_xor_b32_e32 v5, v41, v5
	v_mad_u64_u32 v[9:10], null, 0xcd9e8d57, v5, 0
	s_delay_alu instid0(VALU_DEP_3) | instskip(NEXT) | instid1(VALU_DEP_2)
	v_mad_u64_u32 v[4:5], null, 0xcd9e8d57, v8, 0
	v_xor3_b32 v6, v20, v10, v6
	s_delay_alu instid0(VALU_DEP_2) | instskip(NEXT) | instid1(VALU_DEP_2)
	v_xor3_b32 v8, v21, v5, v9
	v_mad_u64_u32 v[15:16], null, 0xd2511f53, v6, 0
	s_delay_alu instid0(VALU_DEP_2) | instskip(NEXT) | instid1(VALU_DEP_2)
	v_mad_u64_u32 v[5:6], null, 0xd2511f53, v8, 0
	v_xor3_b32 v9, v22, v16, v7
	s_delay_alu instid0(VALU_DEP_2) | instskip(NEXT) | instid1(VALU_DEP_2)
	v_xor3_b32 v6, v23, v6, v15
	v_mad_u64_u32 v[7:8], null, 0xcd9e8d57, v9, 0
	s_delay_alu instid0(VALU_DEP_1) | instskip(NEXT) | instid1(VALU_DEP_3)
	v_xor3_b32 v4, v24, v8, v4
	v_mad_u64_u32 v[8:9], null, 0xcd9e8d57, v6, 0
	s_delay_alu instid0(VALU_DEP_2) | instskip(NEXT) | instid1(VALU_DEP_2)
	v_mad_u64_u32 v[15:16], null, 0xd2511f53, v4, 0
	v_xor3_b32 v6, v25, v9, v7
	s_delay_alu instid0(VALU_DEP_2) | instskip(NEXT) | instid1(VALU_DEP_2)
	v_xor3_b32 v9, v26, v16, v5
	v_mad_u64_u32 v[4:5], null, 0xd2511f53, v6, 0
	s_delay_alu instid0(VALU_DEP_2) | instskip(NEXT) | instid1(VALU_DEP_2)
	v_mad_u64_u32 v[6:7], null, 0xcd9e8d57, v9, 0
	v_xor3_b32 v5, v27, v5, v15
	s_delay_alu instid0(VALU_DEP_2) | instskip(NEXT) | instid1(VALU_DEP_2)
	v_xor3_b32 v15, v28, v7, v8
	v_mad_u64_u32 v[7:8], null, 0xcd9e8d57, v5, 0
	s_delay_alu instid0(VALU_DEP_2) | instskip(NEXT) | instid1(VALU_DEP_2)
	v_mad_u64_u32 v[9:10], null, 0xd2511f53, v15, 0
	v_xor3_b32 v6, v29, v8, v6
	s_delay_alu instid0(VALU_DEP_2) | instskip(NEXT) | instid1(VALU_DEP_2)
	v_xor3_b32 v8, v30, v10, v4
	v_mad_u64_u32 v[4:5], null, 0xd2511f53, v6, 0
	s_delay_alu instid0(VALU_DEP_2) | instskip(NEXT) | instid1(VALU_DEP_2)
	v_mad_u64_u32 v[15:16], null, 0xcd9e8d57, v8, 0
	v_xor3_b32 v5, v31, v5, v9
	s_delay_alu instid0(VALU_DEP_2) | instskip(NEXT) | instid1(VALU_DEP_2)
	v_xor3_b32 v6, v32, v16, v7
	v_mad_u64_u32 v[7:8], null, 0xcd9e8d57, v5, 0
	s_delay_alu instid0(VALU_DEP_2) | instskip(NEXT) | instid1(VALU_DEP_2)
	v_mad_u64_u32 v[9:10], null, 0xd2511f53, v6, 0
	v_xor3_b32 v5, v35, v8, v15
	s_delay_alu instid0(VALU_DEP_2) | instskip(NEXT) | instid1(VALU_DEP_2)
	v_xor3_b32 v4, v36, v10, v4
	v_mad_u64_u32 v[15:16], null, 0xd2511f53, v5, 0
	s_delay_alu instid0(VALU_DEP_2) | instskip(NEXT) | instid1(VALU_DEP_2)
	v_mad_u64_u32 v[5:6], null, 0xcd9e8d57, v4, 0
	v_xor3_b32 v10, v16, v9, v37
	s_delay_alu instid0(VALU_DEP_2) | instskip(NEXT) | instid1(VALU_DEP_2)
	v_xor3_b32 v4, v6, v7, v34
	v_mov_b32_e32 v6, v10
	v_cmpx_lt_i32_e32 1, v33
	s_xor_b32 s14, exec_lo, s14
	s_cbranch_execnz .LBB4_14
; %bb.9:                                ;   in Loop: Header=BB4_8 Depth=1
	s_and_not1_saveexec_b32 s14, s14
	s_cbranch_execnz .LBB4_19
.LBB4_10:                               ;   in Loop: Header=BB4_8 Depth=1
	s_or_b32 exec_lo, exec_lo, s14
	s_delay_alu instid0(SALU_CYCLE_1)
	s_mov_b32 s14, exec_lo
	v_cmpx_gt_i64_e64 s[4:5], v[13:14]
	s_cbranch_execz .LBB4_12
.LBB4_11:                               ;   in Loop: Header=BB4_8 Depth=1
	v_lshrrev_b32_e32 v1, 11, v1
	s_delay_alu instid0(VALU_DEP_1) | instskip(SKIP_1) | instid1(VALU_DEP_2)
	v_cvt_f64_u32_e32 v[7:8], v1
	v_cvt_f64_u32_e32 v[0:1], v0
	v_ldexp_f64 v[7:8], v[7:8], 32
	s_delay_alu instid0(VALU_DEP_1) | instskip(NEXT) | instid1(VALU_DEP_1)
	v_add_f64 v[0:1], v[7:8], v[0:1]
	v_fma_f64 v[0:1], 0x3ca00000, v[0:1], 0x3ca00000
	s_delay_alu instid0(VALU_DEP_1) | instskip(SKIP_1) | instid1(VALU_DEP_1)
	v_cvt_f32_f64_e32 v0, v[0:1]
	v_add_nc_u32_e32 v1, s13, v39
	v_ashrrev_i32_e32 v7, 31, v1
	s_delay_alu instid0(VALU_DEP_3) | instskip(SKIP_1) | instid1(VALU_DEP_3)
	v_fma_f32 v8, s1, v0, s2
	v_add_co_u32 v0, vcc_lo, s8, v1
	v_add_co_ci_u32_e32 v1, vcc_lo, s9, v7, vcc_lo
	s_delay_alu instid0(VALU_DEP_3)
	v_cmp_eq_f32_e32 vcc_lo, s3, v8
	v_cndmask_b32_e64 v7, v8, s2, vcc_lo
	global_store_b32 v[0:1], v7, off
.LBB4_12:                               ;   in Loop: Header=BB4_8 Depth=1
	s_or_b32 exec_lo, exec_lo, s14
	v_add_co_u32 v0, vcc_lo, s10, v13
	v_add_co_ci_u32_e32 v1, vcc_lo, 0, v14, vcc_lo
	s_mov_b32 s14, exec_lo
	s_delay_alu instid0(VALU_DEP_1)
	v_cmpx_gt_i64_e64 s[4:5], v[0:1]
	s_cbranch_execz .LBB4_7
; %bb.13:                               ;   in Loop: Header=BB4_8 Depth=1
	v_lshrrev_b32_e32 v0, 11, v3
	v_cvt_f64_u32_e32 v[2:3], v2
	s_delay_alu instid0(VALU_DEP_2) | instskip(NEXT) | instid1(VALU_DEP_1)
	v_cvt_f64_u32_e32 v[0:1], v0
	v_ldexp_f64 v[0:1], v[0:1], 32
	s_delay_alu instid0(VALU_DEP_1) | instskip(NEXT) | instid1(VALU_DEP_1)
	v_add_f64 v[0:1], v[0:1], v[2:3]
	v_fma_f64 v[0:1], 0x3ca00000, v[0:1], 0x3ca00000
	s_delay_alu instid0(VALU_DEP_1) | instskip(SKIP_1) | instid1(VALU_DEP_1)
	v_cvt_f32_f64_e32 v0, v[0:1]
	v_add_nc_u32_e32 v1, s13, v40
	v_ashrrev_i32_e32 v2, 31, v1
	s_delay_alu instid0(VALU_DEP_3) | instskip(SKIP_1) | instid1(VALU_DEP_3)
	v_fma_f32 v3, s1, v0, s2
	v_add_co_u32 v0, vcc_lo, s8, v1
	v_add_co_ci_u32_e32 v1, vcc_lo, s9, v2, vcc_lo
	s_delay_alu instid0(VALU_DEP_3)
	v_cmp_eq_f32_e32 vcc_lo, s3, v3
	v_cndmask_b32_e64 v2, v3, s2, vcc_lo
	global_store_b32 v[0:1], v2, off
	s_branch .LBB4_7
.LBB4_14:                               ;   in Loop: Header=BB4_8 Depth=1
	s_mov_b32 s15, exec_lo
	v_cmpx_lt_i32_e32 2, v33
	s_xor_b32 s15, exec_lo, s15
; %bb.15:                               ;   in Loop: Header=BB4_8 Depth=1
	v_dual_mov_b32 v7, v3 :: v_dual_mov_b32 v8, v4
	v_mov_b32_e32 v9, v5
	s_delay_alu instid0(VALU_DEP_2) | instskip(NEXT) | instid1(VALU_DEP_2)
	v_dual_mov_b32 v0, v7 :: v_dual_mov_b32 v1, v8
	v_dual_mov_b32 v2, v9 :: v_dual_mov_b32 v3, v10
; %bb.16:                               ;   in Loop: Header=BB4_8 Depth=1
	s_and_not1_saveexec_b32 s15, s15
; %bb.17:                               ;   in Loop: Header=BB4_8 Depth=1
	s_delay_alu instid0(VALU_DEP_1)
	v_dual_mov_b32 v0, v2 :: v_dual_mov_b32 v1, v3
	v_dual_mov_b32 v2, v4 :: v_dual_mov_b32 v3, v5
; %bb.18:                               ;   in Loop: Header=BB4_8 Depth=1
	s_or_b32 exec_lo, exec_lo, s15
	s_and_not1_saveexec_b32 s14, s14
	s_cbranch_execz .LBB4_10
.LBB4_19:                               ;   in Loop: Header=BB4_8 Depth=1
	s_mov_b32 s15, exec_lo
	v_cmpx_eq_u32_e32 1, v33
; %bb.20:                               ;   in Loop: Header=BB4_8 Depth=1
	v_dual_mov_b32 v0, v1 :: v_dual_mov_b32 v1, v2
	v_dual_mov_b32 v2, v3 :: v_dual_mov_b32 v3, v4
; %bb.21:                               ;   in Loop: Header=BB4_8 Depth=1
	s_or_b32 exec_lo, exec_lo, s15
	s_delay_alu instid0(SALU_CYCLE_1) | instskip(NEXT) | instid1(SALU_CYCLE_1)
	s_or_b32 exec_lo, exec_lo, s14
	s_mov_b32 s14, exec_lo
	v_cmpx_gt_i64_e64 s[4:5], v[13:14]
	s_cbranch_execnz .LBB4_11
	s_branch .LBB4_12
.LBB4_22:
	s_endpgm
.LBB4_23:
                                        ; implicit-def: $sgpr2_sgpr3
	s_branch .LBB4_4
	.section	.rodata,"a",@progbits
	.p2align	6, 0x0
	.amdhsa_kernel _ZN2at6native12_GLOBAL__N_143distribution_elementwise_grid_stride_kernelIfLi4EZNS0_9templates4cuda21uniform_and_transformIffPNS_17CUDAGeneratorImplEZZZNS4_14uniform_kernelIS7_EEvRNS_18TensorIteratorBaseEddT_ENKUlvE_clEvENKUlvE0_clEvEUlfE_EEvSA_T1_T2_EUlP25hiprandStatePhilox4_32_10E_ZNS1_27distribution_nullary_kernelIff15HIP_vector_typeIdLj2EES7_SJ_SE_EEvSA_SG_RKT3_T4_EUlifE_EEvlNS_15PhiloxCudaStateESF_SG_
		.amdhsa_group_segment_fixed_size 0
		.amdhsa_private_segment_fixed_size 0
		.amdhsa_kernarg_size 328
		.amdhsa_user_sgpr_count 15
		.amdhsa_user_sgpr_dispatch_ptr 0
		.amdhsa_user_sgpr_queue_ptr 0
		.amdhsa_user_sgpr_kernarg_segment_ptr 1
		.amdhsa_user_sgpr_dispatch_id 0
		.amdhsa_user_sgpr_private_segment_size 0
		.amdhsa_wavefront_size32 1
		.amdhsa_uses_dynamic_stack 0
		.amdhsa_enable_private_segment 0
		.amdhsa_system_sgpr_workgroup_id_x 1
		.amdhsa_system_sgpr_workgroup_id_y 0
		.amdhsa_system_sgpr_workgroup_id_z 0
		.amdhsa_system_sgpr_workgroup_info 0
		.amdhsa_system_vgpr_workitem_id 0
		.amdhsa_next_free_vgpr 42
		.amdhsa_next_free_sgpr 23
		.amdhsa_reserve_vcc 1
		.amdhsa_float_round_mode_32 0
		.amdhsa_float_round_mode_16_64 0
		.amdhsa_float_denorm_mode_32 3
		.amdhsa_float_denorm_mode_16_64 3
		.amdhsa_dx10_clamp 1
		.amdhsa_ieee_mode 1
		.amdhsa_fp16_overflow 0
		.amdhsa_workgroup_processor_mode 1
		.amdhsa_memory_ordered 1
		.amdhsa_forward_progress 0
		.amdhsa_shared_vgpr_count 0
		.amdhsa_exception_fp_ieee_invalid_op 0
		.amdhsa_exception_fp_denorm_src 0
		.amdhsa_exception_fp_ieee_div_zero 0
		.amdhsa_exception_fp_ieee_overflow 0
		.amdhsa_exception_fp_ieee_underflow 0
		.amdhsa_exception_fp_ieee_inexact 0
		.amdhsa_exception_int_div_zero 0
	.end_amdhsa_kernel
	.section	.text._ZN2at6native12_GLOBAL__N_143distribution_elementwise_grid_stride_kernelIfLi4EZNS0_9templates4cuda21uniform_and_transformIffPNS_17CUDAGeneratorImplEZZZNS4_14uniform_kernelIS7_EEvRNS_18TensorIteratorBaseEddT_ENKUlvE_clEvENKUlvE0_clEvEUlfE_EEvSA_T1_T2_EUlP25hiprandStatePhilox4_32_10E_ZNS1_27distribution_nullary_kernelIff15HIP_vector_typeIdLj2EES7_SJ_SE_EEvSA_SG_RKT3_T4_EUlifE_EEvlNS_15PhiloxCudaStateESF_SG_,"axG",@progbits,_ZN2at6native12_GLOBAL__N_143distribution_elementwise_grid_stride_kernelIfLi4EZNS0_9templates4cuda21uniform_and_transformIffPNS_17CUDAGeneratorImplEZZZNS4_14uniform_kernelIS7_EEvRNS_18TensorIteratorBaseEddT_ENKUlvE_clEvENKUlvE0_clEvEUlfE_EEvSA_T1_T2_EUlP25hiprandStatePhilox4_32_10E_ZNS1_27distribution_nullary_kernelIff15HIP_vector_typeIdLj2EES7_SJ_SE_EEvSA_SG_RKT3_T4_EUlifE_EEvlNS_15PhiloxCudaStateESF_SG_,comdat
.Lfunc_end4:
	.size	_ZN2at6native12_GLOBAL__N_143distribution_elementwise_grid_stride_kernelIfLi4EZNS0_9templates4cuda21uniform_and_transformIffPNS_17CUDAGeneratorImplEZZZNS4_14uniform_kernelIS7_EEvRNS_18TensorIteratorBaseEddT_ENKUlvE_clEvENKUlvE0_clEvEUlfE_EEvSA_T1_T2_EUlP25hiprandStatePhilox4_32_10E_ZNS1_27distribution_nullary_kernelIff15HIP_vector_typeIdLj2EES7_SJ_SE_EEvSA_SG_RKT3_T4_EUlifE_EEvlNS_15PhiloxCudaStateESF_SG_, .Lfunc_end4-_ZN2at6native12_GLOBAL__N_143distribution_elementwise_grid_stride_kernelIfLi4EZNS0_9templates4cuda21uniform_and_transformIffPNS_17CUDAGeneratorImplEZZZNS4_14uniform_kernelIS7_EEvRNS_18TensorIteratorBaseEddT_ENKUlvE_clEvENKUlvE0_clEvEUlfE_EEvSA_T1_T2_EUlP25hiprandStatePhilox4_32_10E_ZNS1_27distribution_nullary_kernelIff15HIP_vector_typeIdLj2EES7_SJ_SE_EEvSA_SG_RKT3_T4_EUlifE_EEvlNS_15PhiloxCudaStateESF_SG_
                                        ; -- End function
	.section	.AMDGPU.csdata,"",@progbits
; Kernel info:
; codeLenInByte = 2772
; NumSgprs: 25
; NumVgprs: 42
; ScratchSize: 0
; MemoryBound: 0
; FloatMode: 240
; IeeeMode: 1
; LDSByteSize: 0 bytes/workgroup (compile time only)
; SGPRBlocks: 3
; VGPRBlocks: 5
; NumSGPRsForWavesPerEU: 25
; NumVGPRsForWavesPerEU: 42
; Occupancy: 16
; WaveLimiterHint : 0
; COMPUTE_PGM_RSRC2:SCRATCH_EN: 0
; COMPUTE_PGM_RSRC2:USER_SGPR: 15
; COMPUTE_PGM_RSRC2:TRAP_HANDLER: 0
; COMPUTE_PGM_RSRC2:TGID_X_EN: 1
; COMPUTE_PGM_RSRC2:TGID_Y_EN: 0
; COMPUTE_PGM_RSRC2:TGID_Z_EN: 0
; COMPUTE_PGM_RSRC2:TIDIG_COMP_CNT: 0
	.section	.text._ZN2at6native12_GLOBAL__N_143distribution_elementwise_grid_stride_kernelIfLi4EZNS0_9templates4cuda21uniform_and_transformIffPNS_17CUDAGeneratorImplEZZZNS4_14uniform_kernelIS7_EEvRNS_18TensorIteratorBaseEddT_ENKUlvE_clEvENKUlvE0_clEvEUlfE_EEvSA_T1_T2_EUlP25hiprandStatePhilox4_32_10E_ZNS1_27distribution_nullary_kernelIff15HIP_vector_typeIdLj2EES7_SJ_SE_EEvSA_SG_RKT3_T4_EUlifE0_EEvlNS_15PhiloxCudaStateESF_SG_,"axG",@progbits,_ZN2at6native12_GLOBAL__N_143distribution_elementwise_grid_stride_kernelIfLi4EZNS0_9templates4cuda21uniform_and_transformIffPNS_17CUDAGeneratorImplEZZZNS4_14uniform_kernelIS7_EEvRNS_18TensorIteratorBaseEddT_ENKUlvE_clEvENKUlvE0_clEvEUlfE_EEvSA_T1_T2_EUlP25hiprandStatePhilox4_32_10E_ZNS1_27distribution_nullary_kernelIff15HIP_vector_typeIdLj2EES7_SJ_SE_EEvSA_SG_RKT3_T4_EUlifE0_EEvlNS_15PhiloxCudaStateESF_SG_,comdat
	.globl	_ZN2at6native12_GLOBAL__N_143distribution_elementwise_grid_stride_kernelIfLi4EZNS0_9templates4cuda21uniform_and_transformIffPNS_17CUDAGeneratorImplEZZZNS4_14uniform_kernelIS7_EEvRNS_18TensorIteratorBaseEddT_ENKUlvE_clEvENKUlvE0_clEvEUlfE_EEvSA_T1_T2_EUlP25hiprandStatePhilox4_32_10E_ZNS1_27distribution_nullary_kernelIff15HIP_vector_typeIdLj2EES7_SJ_SE_EEvSA_SG_RKT3_T4_EUlifE0_EEvlNS_15PhiloxCudaStateESF_SG_ ; -- Begin function _ZN2at6native12_GLOBAL__N_143distribution_elementwise_grid_stride_kernelIfLi4EZNS0_9templates4cuda21uniform_and_transformIffPNS_17CUDAGeneratorImplEZZZNS4_14uniform_kernelIS7_EEvRNS_18TensorIteratorBaseEddT_ENKUlvE_clEvENKUlvE0_clEvEUlfE_EEvSA_T1_T2_EUlP25hiprandStatePhilox4_32_10E_ZNS1_27distribution_nullary_kernelIff15HIP_vector_typeIdLj2EES7_SJ_SE_EEvSA_SG_RKT3_T4_EUlifE0_EEvlNS_15PhiloxCudaStateESF_SG_
	.p2align	8
	.type	_ZN2at6native12_GLOBAL__N_143distribution_elementwise_grid_stride_kernelIfLi4EZNS0_9templates4cuda21uniform_and_transformIffPNS_17CUDAGeneratorImplEZZZNS4_14uniform_kernelIS7_EEvRNS_18TensorIteratorBaseEddT_ENKUlvE_clEvENKUlvE0_clEvEUlfE_EEvSA_T1_T2_EUlP25hiprandStatePhilox4_32_10E_ZNS1_27distribution_nullary_kernelIff15HIP_vector_typeIdLj2EES7_SJ_SE_EEvSA_SG_RKT3_T4_EUlifE0_EEvlNS_15PhiloxCudaStateESF_SG_,@function
_ZN2at6native12_GLOBAL__N_143distribution_elementwise_grid_stride_kernelIfLi4EZNS0_9templates4cuda21uniform_and_transformIffPNS_17CUDAGeneratorImplEZZZNS4_14uniform_kernelIS7_EEvRNS_18TensorIteratorBaseEddT_ENKUlvE_clEvENKUlvE0_clEvEUlfE_EEvSA_T1_T2_EUlP25hiprandStatePhilox4_32_10E_ZNS1_27distribution_nullary_kernelIff15HIP_vector_typeIdLj2EES7_SJ_SE_EEvSA_SG_RKT3_T4_EUlifE0_EEvlNS_15PhiloxCudaStateESF_SG_: ; @_ZN2at6native12_GLOBAL__N_143distribution_elementwise_grid_stride_kernelIfLi4EZNS0_9templates4cuda21uniform_and_transformIffPNS_17CUDAGeneratorImplEZZZNS4_14uniform_kernelIS7_EEvRNS_18TensorIteratorBaseEddT_ENKUlvE_clEvENKUlvE0_clEvEUlfE_EEvSA_T1_T2_EUlP25hiprandStatePhilox4_32_10E_ZNS1_27distribution_nullary_kernelIff15HIP_vector_typeIdLj2EES7_SJ_SE_EEvSA_SG_RKT3_T4_EUlifE0_EEvlNS_15PhiloxCudaStateESF_SG_
; %bb.0:
	s_clause 0x2
	s_load_b64 s[4:5], s[0:1], 0x10
	s_load_b128 s[16:19], s[0:1], 0x0
	s_load_b32 s2, s[0:1], 0x20
	s_waitcnt lgkmcnt(0)
	v_dual_mov_b32 v2, s4 :: v_dual_mov_b32 v3, s5
	v_dual_mov_b32 v11, s18 :: v_dual_mov_b32 v12, s19
	s_bitcmp0_b32 s2, 0
	s_mov_b32 s2, 0
	s_cbranch_scc1 .LBB5_2
; %bb.1:
	v_dual_mov_b32 v1, s4 :: v_dual_mov_b32 v2, s5
	v_dual_mov_b32 v4, s18 :: v_dual_mov_b32 v5, s19
	s_load_b64 s[4:5], s[0:1], 0x18
	flat_load_b64 v[2:3], v[1:2]
	flat_load_b64 v[11:12], v[4:5]
	s_waitcnt vmcnt(1) lgkmcnt(0)
	v_add_co_u32 v2, vcc_lo, v2, s4
	v_add_co_ci_u32_e32 v3, vcc_lo, s5, v3, vcc_lo
.LBB5_2:
	s_clause 0x1
	s_load_b32 s3, s[0:1], 0x15c
	s_load_b32 s4, s[0:1], 0x150
	s_waitcnt lgkmcnt(0)
	s_and_b32 s5, s3, 0xffff
	s_add_u32 s6, s16, -1
	s_mul_i32 s28, s4, s5
	s_addc_u32 s3, s17, -1
	s_lshl_b32 s29, s28, 2
	s_cmp_lg_u64 s[2:3], 0
	s_cbranch_scc0 .LBB5_49
; %bb.3:
	v_cvt_f32_ubyte0_e32 v1, 0
	v_cvt_f32_u32_e32 v4, s29
	s_sub_u32 s8, 0, s29
	s_subb_u32 s9, 0, 0
	s_delay_alu instid0(VALU_DEP_1) | instskip(NEXT) | instid1(VALU_DEP_1)
	v_fmamk_f32 v1, v1, 0x4f800000, v4
	v_rcp_f32_e32 v1, v1
	s_waitcnt_depctr 0xfff
	v_mul_f32_e32 v1, 0x5f7ffffc, v1
	s_delay_alu instid0(VALU_DEP_1) | instskip(NEXT) | instid1(VALU_DEP_1)
	v_mul_f32_e32 v4, 0x2f800000, v1
	v_trunc_f32_e32 v4, v4
	s_delay_alu instid0(VALU_DEP_1) | instskip(SKIP_1) | instid1(VALU_DEP_2)
	v_fmamk_f32 v1, v4, 0xcf800000, v1
	v_cvt_u32_f32_e32 v4, v4
	v_cvt_u32_f32_e32 v1, v1
	s_delay_alu instid0(VALU_DEP_2) | instskip(NEXT) | instid1(VALU_DEP_2)
	v_readfirstlane_b32 s2, v4
	v_readfirstlane_b32 s7, v1
	s_delay_alu instid0(VALU_DEP_2) | instskip(NEXT) | instid1(VALU_DEP_1)
	s_mul_i32 s10, s8, s2
	s_mul_hi_u32 s12, s8, s7
	s_mul_i32 s11, s9, s7
	s_add_i32 s10, s12, s10
	s_mul_i32 s13, s8, s7
	s_add_i32 s10, s10, s11
	s_mul_hi_u32 s12, s7, s13
	s_mul_hi_u32 s14, s2, s13
	s_mul_i32 s11, s2, s13
	s_mul_hi_u32 s13, s7, s10
	s_mul_i32 s7, s7, s10
	s_mul_hi_u32 s18, s2, s10
	s_add_u32 s7, s12, s7
	s_addc_u32 s12, 0, s13
	s_add_u32 s7, s7, s11
	s_mul_i32 s10, s2, s10
	s_addc_u32 s7, s12, s14
	s_addc_u32 s11, s18, 0
	s_add_u32 s7, s7, s10
	s_addc_u32 s10, 0, s11
	v_add_co_u32 v1, s7, v1, s7
	s_delay_alu instid0(VALU_DEP_1) | instskip(SKIP_1) | instid1(VALU_DEP_1)
	s_cmp_lg_u32 s7, 0
	s_addc_u32 s2, s2, s10
	v_readfirstlane_b32 s7, v1
	s_mul_i32 s10, s8, s2
	s_delay_alu instid0(VALU_DEP_1)
	s_mul_hi_u32 s11, s8, s7
	s_mul_i32 s9, s9, s7
	s_add_i32 s10, s11, s10
	s_mul_i32 s8, s8, s7
	s_add_i32 s10, s10, s9
	s_mul_hi_u32 s11, s2, s8
	s_mul_i32 s12, s2, s8
	s_mul_hi_u32 s8, s7, s8
	s_mul_hi_u32 s13, s7, s10
	s_mul_i32 s7, s7, s10
	s_mul_hi_u32 s9, s2, s10
	s_add_u32 s7, s8, s7
	s_addc_u32 s8, 0, s13
	s_add_u32 s7, s7, s12
	s_mul_i32 s10, s2, s10
	s_addc_u32 s7, s8, s11
	s_addc_u32 s8, s9, 0
	s_add_u32 s7, s7, s10
	s_addc_u32 s8, 0, s8
	v_add_co_u32 v1, s7, v1, s7
	s_delay_alu instid0(VALU_DEP_1) | instskip(SKIP_2) | instid1(VALU_DEP_1)
	s_cmp_lg_u32 s7, 0
	s_addc_u32 s7, s2, s8
	s_ashr_i32 s8, s3, 31
	v_readfirstlane_b32 s10, v1
	s_add_u32 s2, s6, s8
	s_mov_b32 s9, s8
	s_addc_u32 s3, s3, s8
	s_delay_alu instid0(SALU_CYCLE_1) | instskip(NEXT) | instid1(SALU_CYCLE_1)
	s_xor_b64 s[2:3], s[2:3], s[8:9]
	s_mul_i32 s12, s2, s7
	s_mul_hi_u32 s13, s2, s10
	s_mul_hi_u32 s11, s2, s7
	;; [unrolled: 1-line block ×3, first 2 shown]
	s_mul_i32 s10, s3, s10
	s_add_u32 s12, s13, s12
	s_addc_u32 s11, 0, s11
	s_mul_hi_u32 s14, s3, s7
	s_add_u32 s10, s12, s10
	s_mul_i32 s7, s3, s7
	s_addc_u32 s10, s11, s18
	s_addc_u32 s11, s14, 0
	s_add_u32 s7, s10, s7
	s_addc_u32 s10, 0, s11
	s_mul_i32 s12, s29, s7
	s_add_u32 s11, s7, 1
	v_sub_co_u32 v1, s2, s2, s12
	s_mul_hi_u32 s12, s29, s7
	s_addc_u32 s13, s10, 0
	s_mul_i32 s14, s29, s10
	s_delay_alu instid0(VALU_DEP_1)
	v_sub_co_u32 v4, s18, v1, s29
	s_add_u32 s19, s7, 2
	s_addc_u32 s20, s10, 0
	s_add_i32 s12, s12, s14
	s_cmp_lg_u32 s2, 0
	v_readfirstlane_b32 s2, v4
	s_subb_u32 s3, s3, s12
	s_cmp_lg_u32 s18, 0
	s_subb_u32 s12, s3, 0
	s_delay_alu instid0(VALU_DEP_1) | instskip(SKIP_4) | instid1(SALU_CYCLE_1)
	s_cmp_ge_u32 s2, s29
	s_cselect_b32 s2, -1, 0
	s_cmp_eq_u32 s12, 0
	v_readfirstlane_b32 s12, v1
	s_cselect_b32 s2, s2, -1
	s_cmp_lg_u32 s2, 0
	s_cselect_b32 s2, s19, s11
	s_cselect_b32 s11, s20, s13
	s_cmp_ge_u32 s12, s29
	s_cselect_b32 s12, -1, 0
	s_cmp_eq_u32 s3, 0
	s_cselect_b32 s3, s12, -1
	s_delay_alu instid0(SALU_CYCLE_1) | instskip(SKIP_2) | instid1(SALU_CYCLE_1)
	s_cmp_lg_u32 s3, 0
	s_cselect_b32 s3, s11, s10
	s_cselect_b32 s2, s2, s7
	s_xor_b64 s[2:3], s[2:3], s[8:9]
	s_delay_alu instid0(SALU_CYCLE_1)
	s_sub_u32 s2, s2, s8
	s_subb_u32 s3, s3, s8
	s_cbranch_execnz .LBB5_5
.LBB5_4:
	v_cvt_f32_u32_e32 v1, s29
	s_sub_i32 s3, 0, s29
	s_delay_alu instid0(VALU_DEP_1) | instskip(SKIP_2) | instid1(VALU_DEP_1)
	v_rcp_iflag_f32_e32 v1, v1
	s_waitcnt_depctr 0xfff
	v_mul_f32_e32 v1, 0x4f7ffffe, v1
	v_cvt_u32_f32_e32 v1, v1
	s_delay_alu instid0(VALU_DEP_1) | instskip(NEXT) | instid1(VALU_DEP_1)
	v_readfirstlane_b32 s2, v1
	s_mul_i32 s3, s3, s2
	s_delay_alu instid0(SALU_CYCLE_1) | instskip(NEXT) | instid1(SALU_CYCLE_1)
	s_mul_hi_u32 s3, s2, s3
	s_add_i32 s2, s2, s3
	s_delay_alu instid0(SALU_CYCLE_1) | instskip(NEXT) | instid1(SALU_CYCLE_1)
	s_mul_hi_u32 s2, s6, s2
	s_mul_i32 s3, s2, s29
	s_delay_alu instid0(SALU_CYCLE_1)
	s_sub_i32 s3, s6, s3
	s_add_i32 s6, s2, 1
	s_sub_i32 s7, s3, s29
	s_cmp_ge_u32 s3, s29
	s_cselect_b32 s2, s6, s2
	s_cselect_b32 s3, s7, s3
	s_add_i32 s6, s2, 1
	s_cmp_ge_u32 s3, s29
	s_mov_b32 s3, 0
	s_cselect_b32 s2, s6, s2
.LBB5_5:
	v_mov_b32_e32 v1, 0
	s_add_u32 s2, s2, 1
	s_addc_u32 s3, s3, 0
	s_mul_hi_u32 s6, s28, s2
	s_mul_i32 s3, s28, s3
	v_mad_u64_u32 v[13:14], null, s5, s15, v[0:1]
	s_mul_hi_u32 s4, s4, s5
	s_add_i32 s3, s6, s3
	s_mul_i32 s4, s4, s2
	s_mul_i32 s2, s28, s2
	s_add_i32 s3, s3, s4
	s_mov_b32 s4, exec_lo
	s_lshl_b64 s[2:3], s[2:3], 2
	s_delay_alu instid0(SALU_CYCLE_1)
	v_cmpx_gt_i64_e64 s[2:3], v[13:14]
	s_cbranch_execz .LBB5_48
; %bb.6:
	v_alignbit_b32 v17, v3, v2, 2
	v_mad_u64_u32 v[4:5], null, 0xcd9e8d57, v13, 0
	v_lshrrev_b32_e32 v18, 2, v3
	s_waitcnt vmcnt(0)
	v_dual_mov_b32 v9, v12 :: v_dual_add_nc_u32 v28, 0x8ff34781, v11
	v_mad_u64_u32 v[0:1], null, 0xd2511f53, v17, 0
	v_add_co_u32 v20, null, 0x9e3779b9, v11
	v_xor3_b32 v3, v11, v5, v18
	s_delay_alu instid0(VALU_DEP_4) | instskip(SKIP_2) | instid1(VALU_DEP_4)
	v_add_co_u32 v19, null, 0xbb67ae85, v9
	v_add_co_u32 v21, null, 0x3c6ef372, v11
	v_xor_b32_e32 v1, v1, v12
	v_mad_u64_u32 v[5:6], null, 0xd2511f53, v3, 0
	v_add_co_u32 v22, null, 0x76cf5d0a, v9
	s_delay_alu instid0(VALU_DEP_3) | instskip(SKIP_2) | instid1(VALU_DEP_3)
	v_xor_b32_e32 v1, v1, v14
	v_add_co_u32 v23, null, 0x32370b8f, v9
	v_add_co_u32 v24, null, 0xdaa66d2b, v11
	v_mad_u64_u32 v[7:8], null, 0xcd9e8d57, v1, 0
	v_xor3_b32 v3, v19, v6, v0
	v_add_co_u32 v25, null, 0x78dde6e4, v11
	v_add_co_u32 v26, null, 0xed9eba14, v9
	s_delay_alu instid0(VALU_DEP_3) | instskip(SKIP_3) | instid1(VALU_DEP_3)
	v_mad_u64_u32 v[0:1], null, 0xcd9e8d57, v3, 0
	v_xor3_b32 v6, v20, v8, v4
	v_dual_mov_b32 v38, v13 :: v_dual_and_b32 v27, 3, v2
	v_add_co_u32 v29, null, 0xa9066899, v9
	v_mad_u64_u32 v[3:4], null, 0xd2511f53, v6, 0
	v_xor3_b32 v1, v21, v1, v7
	v_add_co_u32 v30, null, 0x1715609d, v11
	v_add_co_u32 v32, null, 0xb54cda56, v11
	v_add_co_u32 v34, null, 0x646e171e, v9
	v_xor3_b32 v8, v22, v4, v5
	v_mad_u64_u32 v[4:5], null, 0xd2511f53, v1, 0
	s_load_b256 s[4:11], s[0:1], 0x30
	v_add_co_u32 v31, null, 0x5384540f, v11
	s_delay_alu instid0(VALU_DEP_3) | instskip(SKIP_1) | instid1(VALU_DEP_4)
	v_mad_u64_u32 v[6:7], null, 0xcd9e8d57, v8, 0
	v_add_co_u32 v35, null, 0x1fd5c5a3, v9
	v_xor3_b32 v3, v23, v5, v3
	v_add_co_u32 v33, null, 0xf1bbcdc8, v11
	v_add_co_u32 v36, null, 0xdb3d7428, v9
	v_xor3_b32 v5, v24, v7, v0
	s_delay_alu instid0(VALU_DEP_4)
	v_mad_u64_u32 v[0:1], null, 0xcd9e8d57, v3, 0
	s_add_u32 s18, s0, 48
	s_clause 0x1
	s_load_b64 s[20:21], s[0:1], 0xf4
	s_load_b64 s[22:23], s[0:1], 0x138
	v_mad_u64_u32 v[7:8], null, 0xd2511f53, v5, 0
	s_load_b128 s[12:15], s[0:1], 0x140
	s_addc_u32 s19, s1, 0
	v_xor3_b32 v3, v25, v1, v6
	s_waitcnt lgkmcnt(0)
	s_add_i32 s24, s4, -1
	v_add_nc_u32_e32 v37, 0x96a522ad, v12
	s_cmp_gt_u32 s24, 1
	v_xor3_b32 v5, v26, v8, v4
	v_mad_u64_u32 v[1:2], null, 0xd2511f53, v3, 0
	s_cselect_b32 s11, -1, 0
	s_cmp_lg_u32 s4, 0
	s_delay_alu instid0(VALU_DEP_2) | instskip(SKIP_2) | instid1(VALU_DEP_2)
	v_mad_u64_u32 v[3:4], null, 0xcd9e8d57, v5, 0
	s_cselect_b32 s15, -1, 0
	s_add_u32 s0, s0, 0xf4
	v_xor3_b32 v2, v29, v2, v7
	s_addc_u32 s1, s1, 0
	s_min_u32 s25, s24, 15
	s_cmp_gt_u32 s4, 1
	s_delay_alu instid0(VALU_DEP_2) | instskip(SKIP_3) | instid1(VALU_DEP_2)
	v_xor3_b32 v0, v30, v4, v0
	v_mad_u64_u32 v[4:5], null, 0xcd9e8d57, v2, 0
	s_cselect_b32 s4, -1, 0
	s_add_i32 s25, s25, 1
	v_mad_u64_u32 v[6:7], null, 0xd2511f53, v0, 0
	s_and_b32 s31, s25, 3
	s_cmp_lg_u32 s24, 2
	s_delay_alu instid0(VALU_DEP_2) | instskip(SKIP_3) | instid1(VALU_DEP_3)
	v_xor3_b32 v2, v32, v5, v3
	s_cselect_b32 s33, -1, 0
	s_and_b32 s34, s25, 28
	v_mov_b32_e32 v39, v14
	v_xor3_b32 v5, v34, v7, v1
	v_mad_u64_u32 v[0:1], null, 0xd2511f53, v2, 0
	s_cmp_lg_u32 s31, 0
	s_mov_b32 s30, 0
	s_delay_alu instid0(VALU_DEP_2) | instskip(SKIP_1) | instid1(VALU_DEP_2)
	v_mad_u64_u32 v[2:3], null, 0xcd9e8d57, v5, 0
	s_cselect_b32 s35, -1, 0
	v_xor3_b32 v1, v35, v1, v6
	s_delay_alu instid0(VALU_DEP_2) | instskip(NEXT) | instid1(VALU_DEP_2)
	v_xor3_b32 v3, v31, v3, v4
	v_mad_u64_u32 v[4:5], null, 0xcd9e8d57, v1, 0
	s_delay_alu instid0(VALU_DEP_2) | instskip(NEXT) | instid1(VALU_DEP_2)
	v_mad_u64_u32 v[6:7], null, 0xd2511f53, v3, 0
	v_xor3_b32 v1, v33, v5, v2
	s_delay_alu instid0(VALU_DEP_2) | instskip(NEXT) | instid1(VALU_DEP_2)
	v_xor3_b32 v0, v36, v7, v0
	v_mad_u64_u32 v[7:8], null, 0xd2511f53, v1, 0
	s_delay_alu instid0(VALU_DEP_2) | instskip(NEXT) | instid1(VALU_DEP_2)
	v_mad_u64_u32 v[1:2], null, 0xcd9e8d57, v0, 0
	v_mov_b32_e32 v3, v7
	s_delay_alu instid0(VALU_DEP_2) | instskip(NEXT) | instid1(VALU_DEP_4)
	v_xor3_b32 v0, v2, v4, v28
	v_xor3_b32 v2, v8, v6, v37
	s_branch .LBB5_9
.LBB5_7:                                ;   in Loop: Header=BB5_9 Depth=1
	v_lshrrev_b32_e32 v0, 11, v3
	v_cvt_f64_u32_e32 v[2:3], v2
	s_delay_alu instid0(VALU_DEP_2) | instskip(NEXT) | instid1(VALU_DEP_1)
	v_cvt_f64_u32_e32 v[7:8], v0
	v_ldexp_f64 v[7:8], v[7:8], 32
	s_delay_alu instid0(VALU_DEP_1) | instskip(NEXT) | instid1(VALU_DEP_1)
	v_add_f64 v[2:3], v[7:8], v[2:3]
	v_fma_f64 v[2:3], 0x3ca00000, v[2:3], 0x3ca00000
	s_delay_alu instid0(VALU_DEP_1) | instskip(NEXT) | instid1(VALU_DEP_1)
	v_cvt_f32_f64_e32 v0, v[2:3]
	v_fma_f32 v0, s12, v0, s13
	s_delay_alu instid0(VALU_DEP_1)
	v_cmp_eq_f32_e32 vcc_lo, s14, v0
	v_cndmask_b32_e64 v0, v0, s13, vcc_lo
	global_store_b32 v1, v0, s[22:23]
.LBB5_8:                                ;   in Loop: Header=BB5_9 Depth=1
	s_or_b32 exec_lo, exec_lo, s36
	v_add_co_u32 v13, vcc_lo, v13, s29
	v_add_co_ci_u32_e32 v14, vcc_lo, 0, v14, vcc_lo
	v_mov_b32_e32 v7, v15
	v_dual_mov_b32 v0, v4 :: v_dual_mov_b32 v1, v5
	s_delay_alu instid0(VALU_DEP_3) | instskip(NEXT) | instid1(VALU_DEP_3)
	v_cmp_le_i64_e32 vcc_lo, s[2:3], v[13:14]
	v_dual_mov_b32 v2, v6 :: v_dual_mov_b32 v3, v7
	s_waitcnt_vscnt null, 0x0
	s_barrier
	buffer_gl0_inv
	s_or_b32 s30, vcc_lo, s30
	s_delay_alu instid0(SALU_CYCLE_1)
	s_and_not1_b32 exec_lo, exec_lo, s30
	s_cbranch_execz .LBB5_48
.LBB5_9:                                ; =>This Loop Header: Depth=1
                                        ;     Child Loop BB5_24 Depth 2
                                        ;     Child Loop BB5_29 Depth 2
                                        ;     Child Loop BB5_39 Depth 2
                                        ;     Child Loop BB5_44 Depth 2
	v_add_co_u32 v17, vcc_lo, v17, 1
	s_delay_alu instid0(VALU_DEP_1) | instskip(SKIP_2) | instid1(VALU_DEP_1)
	v_cndmask_b32_e64 v4, 0, 1, vcc_lo
	v_add_co_ci_u32_e32 v18, vcc_lo, 0, v18, vcc_lo
	s_mov_b32 s24, exec_lo
	v_cmp_eq_u32_e32 vcc_lo, 0, v18
	s_delay_alu instid0(VALU_DEP_3) | instskip(NEXT) | instid1(VALU_DEP_1)
	v_cndmask_b32_e32 v4, 0, v4, vcc_lo
	v_add_nc_u32_e32 v38, v4, v38
	s_delay_alu instid0(VALU_DEP_1) | instskip(SKIP_2) | instid1(VALU_DEP_2)
	v_cmp_eq_u32_e32 vcc_lo, 0, v38
	v_mad_u64_u32 v[6:7], null, 0xcd9e8d57, v38, 0
	v_cndmask_b32_e32 v4, 0, v4, vcc_lo
	v_xor3_b32 v9, v7, v11, v18
	s_delay_alu instid0(VALU_DEP_2) | instskip(SKIP_1) | instid1(VALU_DEP_3)
	v_add_nc_u32_e32 v39, v4, v39
	v_mad_u64_u32 v[4:5], null, 0xd2511f53, v17, 0
	v_mad_u64_u32 v[7:8], null, 0xd2511f53, v9, 0
	s_delay_alu instid0(VALU_DEP_2) | instskip(NEXT) | instid1(VALU_DEP_2)
	v_xor_b32_e32 v5, v5, v12
	v_xor3_b32 v8, v19, v8, v4
	s_delay_alu instid0(VALU_DEP_2) | instskip(NEXT) | instid1(VALU_DEP_1)
	v_xor_b32_e32 v5, v39, v5
	v_mad_u64_u32 v[9:10], null, 0xcd9e8d57, v5, 0
	s_delay_alu instid0(VALU_DEP_3) | instskip(NEXT) | instid1(VALU_DEP_2)
	v_mad_u64_u32 v[4:5], null, 0xcd9e8d57, v8, 0
	v_xor3_b32 v6, v20, v10, v6
	s_delay_alu instid0(VALU_DEP_2) | instskip(NEXT) | instid1(VALU_DEP_2)
	v_xor3_b32 v8, v21, v5, v9
	v_mad_u64_u32 v[15:16], null, 0xd2511f53, v6, 0
	s_delay_alu instid0(VALU_DEP_2) | instskip(NEXT) | instid1(VALU_DEP_2)
	v_mad_u64_u32 v[5:6], null, 0xd2511f53, v8, 0
	v_xor3_b32 v9, v22, v16, v7
	s_delay_alu instid0(VALU_DEP_2) | instskip(NEXT) | instid1(VALU_DEP_2)
	v_xor3_b32 v6, v23, v6, v15
	v_mad_u64_u32 v[7:8], null, 0xcd9e8d57, v9, 0
	s_delay_alu instid0(VALU_DEP_1) | instskip(NEXT) | instid1(VALU_DEP_3)
	v_xor3_b32 v4, v24, v8, v4
	v_mad_u64_u32 v[8:9], null, 0xcd9e8d57, v6, 0
	s_delay_alu instid0(VALU_DEP_2) | instskip(NEXT) | instid1(VALU_DEP_2)
	v_mad_u64_u32 v[15:16], null, 0xd2511f53, v4, 0
	v_xor3_b32 v6, v25, v9, v7
	s_delay_alu instid0(VALU_DEP_2) | instskip(NEXT) | instid1(VALU_DEP_2)
	v_xor3_b32 v9, v26, v16, v5
	v_mad_u64_u32 v[4:5], null, 0xd2511f53, v6, 0
	s_delay_alu instid0(VALU_DEP_2) | instskip(NEXT) | instid1(VALU_DEP_2)
	v_mad_u64_u32 v[6:7], null, 0xcd9e8d57, v9, 0
	v_xor3_b32 v5, v29, v5, v15
	s_delay_alu instid0(VALU_DEP_2) | instskip(NEXT) | instid1(VALU_DEP_2)
	;; [unrolled: 6-line block ×6, first 2 shown]
	v_xor3_b32 v4, v6, v7, v28
	v_mov_b32_e32 v6, v10
	v_cmpx_lt_i32_e32 1, v27
	s_xor_b32 s24, exec_lo, s24
	s_cbranch_execnz .LBB5_12
; %bb.10:                               ;   in Loop: Header=BB5_9 Depth=1
	s_and_not1_saveexec_b32 s24, s24
	s_cbranch_execnz .LBB5_17
.LBB5_11:                               ;   in Loop: Header=BB5_9 Depth=1
	s_or_b32 exec_lo, exec_lo, s24
	s_delay_alu instid0(SALU_CYCLE_1)
	s_mov_b32 s36, exec_lo
	v_cmpx_gt_i64_e64 s[16:17], v[13:14]
	s_cbranch_execnz .LBB5_20
	s_branch .LBB5_34
.LBB5_12:                               ;   in Loop: Header=BB5_9 Depth=1
	s_mov_b32 s25, exec_lo
	v_cmpx_lt_i32_e32 2, v27
	s_xor_b32 s25, exec_lo, s25
; %bb.13:                               ;   in Loop: Header=BB5_9 Depth=1
	v_dual_mov_b32 v7, v3 :: v_dual_mov_b32 v8, v4
	v_mov_b32_e32 v9, v5
	s_delay_alu instid0(VALU_DEP_2) | instskip(NEXT) | instid1(VALU_DEP_2)
	v_dual_mov_b32 v0, v7 :: v_dual_mov_b32 v1, v8
	v_dual_mov_b32 v2, v9 :: v_dual_mov_b32 v3, v10
; %bb.14:                               ;   in Loop: Header=BB5_9 Depth=1
	s_and_not1_saveexec_b32 s25, s25
; %bb.15:                               ;   in Loop: Header=BB5_9 Depth=1
	s_delay_alu instid0(VALU_DEP_1)
	v_dual_mov_b32 v0, v2 :: v_dual_mov_b32 v1, v3
	v_dual_mov_b32 v2, v4 :: v_dual_mov_b32 v3, v5
; %bb.16:                               ;   in Loop: Header=BB5_9 Depth=1
	s_or_b32 exec_lo, exec_lo, s25
	s_and_not1_saveexec_b32 s24, s24
	s_cbranch_execz .LBB5_11
.LBB5_17:                               ;   in Loop: Header=BB5_9 Depth=1
	s_mov_b32 s25, exec_lo
	v_cmpx_eq_u32_e32 1, v27
; %bb.18:                               ;   in Loop: Header=BB5_9 Depth=1
	v_dual_mov_b32 v0, v1 :: v_dual_mov_b32 v1, v2
	v_dual_mov_b32 v2, v3 :: v_dual_mov_b32 v3, v4
; %bb.19:                               ;   in Loop: Header=BB5_9 Depth=1
	s_or_b32 exec_lo, exec_lo, s25
	s_delay_alu instid0(SALU_CYCLE_1) | instskip(NEXT) | instid1(SALU_CYCLE_1)
	s_or_b32 exec_lo, exec_lo, s24
	s_mov_b32 s36, exec_lo
	v_cmpx_gt_i64_e64 s[16:17], v[13:14]
	s_cbranch_execz .LBB5_34
.LBB5_20:                               ;   in Loop: Header=BB5_9 Depth=1
	s_and_not1_b32 vcc_lo, exec_lo, s11
	s_cbranch_vccnz .LBB5_26
; %bb.21:                               ;   in Loop: Header=BB5_9 Depth=1
	v_mov_b32_e32 v7, 0
	s_and_not1_b32 vcc_lo, exec_lo, s15
	s_cbranch_vccnz .LBB5_30
; %bb.22:                               ;   in Loop: Header=BB5_9 Depth=1
	s_and_not1_b32 vcc_lo, exec_lo, s33
	s_mov_b32 s24, 0
	s_cbranch_vccnz .LBB5_27
; %bb.23:                               ;   in Loop: Header=BB5_9 Depth=1
	v_dual_mov_b32 v7, 0 :: v_dual_mov_b32 v8, v13
	s_mov_b32 s37, 0
	s_mov_b64 s[24:25], s[18:19]
	s_mov_b64 s[26:27], s[0:1]
.LBB5_24:                               ;   Parent Loop BB5_9 Depth=1
                                        ; =>  This Inner Loop Header: Depth=2
	s_clause 0x1
	s_load_b256 s[40:47], s[24:25], 0x4
	s_load_b128 s[48:51], s[24:25], 0x24
	s_load_b128 s[52:55], s[26:27], 0x0
	s_add_u32 s24, s24, 48
	s_addc_u32 s25, s25, 0
	s_add_i32 s37, s37, 4
	s_add_u32 s26, s26, 16
	s_addc_u32 s27, s27, 0
	s_cmp_lg_u32 s34, s37
	s_waitcnt lgkmcnt(0)
	v_mul_hi_u32 v9, s41, v8
	s_delay_alu instid0(VALU_DEP_1) | instskip(NEXT) | instid1(VALU_DEP_1)
	v_add_nc_u32_e32 v9, v8, v9
	v_lshrrev_b32_e32 v9, s42, v9
	s_delay_alu instid0(VALU_DEP_1) | instskip(SKIP_1) | instid1(VALU_DEP_2)
	v_mul_hi_u32 v10, s44, v9
	v_mul_lo_u32 v41, v9, s40
	v_add_nc_u32_e32 v10, v9, v10
	s_delay_alu instid0(VALU_DEP_2) | instskip(NEXT) | instid1(VALU_DEP_2)
	v_sub_nc_u32_e32 v41, v8, v41
	v_lshrrev_b32_e32 v10, s45, v10
	s_delay_alu instid0(VALU_DEP_2) | instskip(NEXT) | instid1(VALU_DEP_2)
	v_mul_lo_u32 v41, v41, s52
	v_mul_hi_u32 v16, s47, v10
	v_mul_lo_u32 v42, v10, s43
	s_delay_alu instid0(VALU_DEP_2) | instskip(NEXT) | instid1(VALU_DEP_2)
	v_add_nc_u32_e32 v16, v10, v16
	v_sub_nc_u32_e32 v9, v9, v42
	s_delay_alu instid0(VALU_DEP_2) | instskip(NEXT) | instid1(VALU_DEP_2)
	v_lshrrev_b32_e32 v16, s48, v16
	v_mul_lo_u32 v9, v9, s53
	s_delay_alu instid0(VALU_DEP_2) | instskip(NEXT) | instid1(VALU_DEP_2)
	v_mul_hi_u32 v40, s50, v16
	v_add3_u32 v7, v41, v7, v9
	s_delay_alu instid0(VALU_DEP_2) | instskip(NEXT) | instid1(VALU_DEP_1)
	v_add_nc_u32_e32 v40, v16, v40
	v_lshrrev_b32_e32 v8, s51, v40
	v_mul_lo_u32 v40, v16, s46
	s_delay_alu instid0(VALU_DEP_2) | instskip(NEXT) | instid1(VALU_DEP_2)
	v_mul_lo_u32 v43, v8, s49
	v_sub_nc_u32_e32 v10, v10, v40
	s_delay_alu instid0(VALU_DEP_2) | instskip(NEXT) | instid1(VALU_DEP_2)
	v_sub_nc_u32_e32 v16, v16, v43
	v_mul_lo_u32 v10, v10, s54
	s_delay_alu instid0(VALU_DEP_2) | instskip(NEXT) | instid1(VALU_DEP_1)
	v_mul_lo_u32 v16, v16, s55
	v_add3_u32 v7, v10, v7, v16
	s_cbranch_scc1 .LBB5_24
; %bb.25:                               ;   in Loop: Header=BB5_9 Depth=1
	s_mov_b32 s24, s34
	s_and_not1_b32 vcc_lo, exec_lo, s35
	s_cbranch_vccz .LBB5_28
	s_branch .LBB5_30
.LBB5_26:                               ;   in Loop: Header=BB5_9 Depth=1
                                        ; implicit-def: $vgpr7
	s_branch .LBB5_31
.LBB5_27:                               ;   in Loop: Header=BB5_9 Depth=1
	v_mov_b32_e32 v8, v13
	s_and_not1_b32 vcc_lo, exec_lo, s35
	s_cbranch_vccnz .LBB5_30
.LBB5_28:                               ;   in Loop: Header=BB5_9 Depth=1
	s_lshl_b32 s25, s24, 2
	s_mul_i32 s26, s24, 12
	s_add_u32 s24, s0, s25
	s_addc_u32 s25, s1, 0
	s_add_u32 s26, s18, s26
	s_addc_u32 s27, s19, 0
	s_mov_b32 s37, s31
	.p2align	6
.LBB5_29:                               ;   Parent Loop BB5_9 Depth=1
                                        ; =>  This Inner Loop Header: Depth=2
	s_clause 0x1
	s_load_b64 s[38:39], s[26:27], 0x4
	s_load_b32 s40, s[26:27], 0xc
	s_add_u32 s26, s26, 12
	s_addc_u32 s27, s27, 0
	s_waitcnt lgkmcnt(0)
	v_mul_hi_u32 v9, s39, v8
	s_load_b32 s39, s[24:25], 0x0
	s_add_u32 s24, s24, 4
	s_addc_u32 s25, s25, 0
	s_add_i32 s37, s37, -1
	s_delay_alu instid0(SALU_CYCLE_1) | instskip(NEXT) | instid1(VALU_DEP_1)
	s_cmp_lg_u32 s37, 0
	v_add_nc_u32_e32 v9, v8, v9
	s_delay_alu instid0(VALU_DEP_1) | instskip(NEXT) | instid1(VALU_DEP_1)
	v_lshrrev_b32_e32 v16, s40, v9
	v_mul_lo_u32 v9, v16, s38
	s_delay_alu instid0(VALU_DEP_1) | instskip(SKIP_1) | instid1(VALU_DEP_1)
	v_sub_nc_u32_e32 v8, v8, v9
	s_waitcnt lgkmcnt(0)
	v_mad_u64_u32 v[9:10], null, v8, s39, v[7:8]
	s_delay_alu instid0(VALU_DEP_1)
	v_dual_mov_b32 v8, v16 :: v_dual_mov_b32 v7, v9
	s_cbranch_scc1 .LBB5_29
.LBB5_30:                               ;   in Loop: Header=BB5_9 Depth=1
	s_cbranch_execnz .LBB5_33
.LBB5_31:                               ;   in Loop: Header=BB5_9 Depth=1
	v_mul_hi_u32 v7, v13, s6
	s_and_not1_b32 vcc_lo, exec_lo, s4
	s_delay_alu instid0(VALU_DEP_1) | instskip(NEXT) | instid1(VALU_DEP_1)
	v_add_nc_u32_e32 v7, v7, v13
	v_lshrrev_b32_e32 v8, s7, v7
	s_delay_alu instid0(VALU_DEP_1) | instskip(NEXT) | instid1(VALU_DEP_1)
	v_mul_lo_u32 v7, v8, s5
	v_sub_nc_u32_e32 v7, v13, v7
	s_delay_alu instid0(VALU_DEP_1)
	v_mul_lo_u32 v7, v7, s20
	s_cbranch_vccnz .LBB5_33
; %bb.32:                               ;   in Loop: Header=BB5_9 Depth=1
	v_mul_hi_u32 v9, s9, v8
	s_delay_alu instid0(VALU_DEP_1) | instskip(NEXT) | instid1(VALU_DEP_1)
	v_add_nc_u32_e32 v9, v8, v9
	v_lshrrev_b32_e32 v9, s10, v9
	s_delay_alu instid0(VALU_DEP_1) | instskip(NEXT) | instid1(VALU_DEP_1)
	v_mul_lo_u32 v9, v9, s8
	v_sub_nc_u32_e32 v10, v8, v9
	s_delay_alu instid0(VALU_DEP_1) | instskip(NEXT) | instid1(VALU_DEP_1)
	v_mad_u64_u32 v[8:9], null, v10, s21, v[7:8]
	v_mov_b32_e32 v7, v8
.LBB5_33:                               ;   in Loop: Header=BB5_9 Depth=1
	v_lshrrev_b32_e32 v1, 11, v1
	s_delay_alu instid0(VALU_DEP_1) | instskip(SKIP_1) | instid1(VALU_DEP_2)
	v_cvt_f64_u32_e32 v[8:9], v1
	v_cvt_f64_u32_e32 v[0:1], v0
	v_ldexp_f64 v[8:9], v[8:9], 32
	s_delay_alu instid0(VALU_DEP_1) | instskip(NEXT) | instid1(VALU_DEP_1)
	v_add_f64 v[0:1], v[8:9], v[0:1]
	v_fma_f64 v[0:1], 0x3ca00000, v[0:1], 0x3ca00000
	s_delay_alu instid0(VALU_DEP_1) | instskip(NEXT) | instid1(VALU_DEP_1)
	v_cvt_f32_f64_e32 v0, v[0:1]
	v_fma_f32 v0, s12, v0, s13
	s_delay_alu instid0(VALU_DEP_1)
	v_cmp_eq_f32_e32 vcc_lo, s14, v0
	v_cndmask_b32_e64 v0, v0, s13, vcc_lo
	global_store_b32 v7, v0, s[22:23]
.LBB5_34:                               ;   in Loop: Header=BB5_9 Depth=1
	s_or_b32 exec_lo, exec_lo, s36
	v_add_co_u32 v0, vcc_lo, v13, s28
	v_add_co_ci_u32_e32 v1, vcc_lo, 0, v14, vcc_lo
	s_mov_b32 s36, exec_lo
	s_delay_alu instid0(VALU_DEP_1)
	v_cmpx_gt_i64_e64 s[16:17], v[0:1]
	s_cbranch_execz .LBB5_8
; %bb.35:                               ;   in Loop: Header=BB5_9 Depth=1
	s_and_not1_b32 vcc_lo, exec_lo, s11
	s_cbranch_vccnz .LBB5_41
; %bb.36:                               ;   in Loop: Header=BB5_9 Depth=1
	v_mov_b32_e32 v1, 0
	s_and_not1_b32 vcc_lo, exec_lo, s15
	s_cbranch_vccnz .LBB5_45
; %bb.37:                               ;   in Loop: Header=BB5_9 Depth=1
	s_and_not1_b32 vcc_lo, exec_lo, s33
	s_mov_b32 s24, 0
	s_cbranch_vccnz .LBB5_42
; %bb.38:                               ;   in Loop: Header=BB5_9 Depth=1
	v_mov_b32_e32 v1, 0
	v_mov_b32_e32 v7, v0
	s_mov_b32 s37, 0
	s_mov_b64 s[24:25], s[18:19]
	s_mov_b64 s[26:27], s[0:1]
.LBB5_39:                               ;   Parent Loop BB5_9 Depth=1
                                        ; =>  This Inner Loop Header: Depth=2
	s_clause 0x1
	s_load_b256 s[40:47], s[24:25], 0x4
	s_load_b128 s[48:51], s[24:25], 0x24
	s_load_b128 s[52:55], s[26:27], 0x0
	s_add_u32 s24, s24, 48
	s_addc_u32 s25, s25, 0
	s_add_i32 s37, s37, 4
	s_add_u32 s26, s26, 16
	s_addc_u32 s27, s27, 0
	s_cmp_eq_u32 s34, s37
	s_waitcnt lgkmcnt(0)
	v_mul_hi_u32 v8, s41, v7
	s_delay_alu instid0(VALU_DEP_1) | instskip(NEXT) | instid1(VALU_DEP_1)
	v_add_nc_u32_e32 v8, v7, v8
	v_lshrrev_b32_e32 v8, s42, v8
	s_delay_alu instid0(VALU_DEP_1) | instskip(SKIP_1) | instid1(VALU_DEP_2)
	v_mul_hi_u32 v9, s44, v8
	v_mul_lo_u32 v40, v8, s40
	v_add_nc_u32_e32 v9, v8, v9
	s_delay_alu instid0(VALU_DEP_2) | instskip(NEXT) | instid1(VALU_DEP_2)
	v_sub_nc_u32_e32 v40, v7, v40
	v_lshrrev_b32_e32 v9, s45, v9
	s_delay_alu instid0(VALU_DEP_2) | instskip(NEXT) | instid1(VALU_DEP_2)
	v_mul_lo_u32 v40, v40, s52
	v_mul_hi_u32 v10, s47, v9
	v_mul_lo_u32 v41, v9, s43
	s_delay_alu instid0(VALU_DEP_2) | instskip(NEXT) | instid1(VALU_DEP_2)
	v_add_nc_u32_e32 v10, v9, v10
	v_sub_nc_u32_e32 v8, v8, v41
	s_delay_alu instid0(VALU_DEP_2) | instskip(NEXT) | instid1(VALU_DEP_2)
	v_lshrrev_b32_e32 v10, s48, v10
	v_mul_lo_u32 v8, v8, s53
	s_delay_alu instid0(VALU_DEP_2) | instskip(NEXT) | instid1(VALU_DEP_2)
	v_mul_hi_u32 v16, s50, v10
	v_add3_u32 v1, v40, v1, v8
	s_delay_alu instid0(VALU_DEP_2) | instskip(NEXT) | instid1(VALU_DEP_1)
	v_add_nc_u32_e32 v16, v10, v16
	v_lshrrev_b32_e32 v7, s51, v16
	v_mul_lo_u32 v16, v10, s46
	s_delay_alu instid0(VALU_DEP_2) | instskip(NEXT) | instid1(VALU_DEP_2)
	v_mul_lo_u32 v42, v7, s49
	v_sub_nc_u32_e32 v9, v9, v16
	s_delay_alu instid0(VALU_DEP_2) | instskip(NEXT) | instid1(VALU_DEP_2)
	v_sub_nc_u32_e32 v10, v10, v42
	v_mul_lo_u32 v9, v9, s54
	s_delay_alu instid0(VALU_DEP_2) | instskip(NEXT) | instid1(VALU_DEP_1)
	v_mul_lo_u32 v10, v10, s55
	v_add3_u32 v1, v9, v1, v10
	s_cbranch_scc0 .LBB5_39
; %bb.40:                               ;   in Loop: Header=BB5_9 Depth=1
	s_mov_b32 s24, s34
	s_and_not1_b32 vcc_lo, exec_lo, s35
	s_cbranch_vccz .LBB5_43
	s_branch .LBB5_45
.LBB5_41:                               ;   in Loop: Header=BB5_9 Depth=1
                                        ; implicit-def: $vgpr1
	s_branch .LBB5_46
.LBB5_42:                               ;   in Loop: Header=BB5_9 Depth=1
	v_mov_b32_e32 v7, v0
	s_and_not1_b32 vcc_lo, exec_lo, s35
	s_cbranch_vccnz .LBB5_45
.LBB5_43:                               ;   in Loop: Header=BB5_9 Depth=1
	s_lshl_b32 s25, s24, 2
	s_mul_i32 s26, s24, 12
	s_add_u32 s24, s0, s25
	s_addc_u32 s25, s1, 0
	s_add_u32 s26, s18, s26
	s_addc_u32 s27, s19, 0
	s_mov_b32 s37, s31
	.p2align	6
.LBB5_44:                               ;   Parent Loop BB5_9 Depth=1
                                        ; =>  This Inner Loop Header: Depth=2
	s_clause 0x1
	s_load_b64 s[38:39], s[26:27], 0x4
	s_load_b32 s40, s[26:27], 0xc
	s_add_u32 s26, s26, 12
	s_addc_u32 s27, s27, 0
	s_waitcnt lgkmcnt(0)
	v_mul_hi_u32 v8, s39, v7
	s_load_b32 s39, s[24:25], 0x0
	s_add_u32 s24, s24, 4
	s_addc_u32 s25, s25, 0
	s_add_i32 s37, s37, -1
	s_delay_alu instid0(SALU_CYCLE_1) | instskip(NEXT) | instid1(VALU_DEP_1)
	s_cmp_lg_u32 s37, 0
	v_add_nc_u32_e32 v8, v7, v8
	s_delay_alu instid0(VALU_DEP_1) | instskip(NEXT) | instid1(VALU_DEP_1)
	v_lshrrev_b32_e32 v10, s40, v8
	v_mul_lo_u32 v8, v10, s38
	s_delay_alu instid0(VALU_DEP_1) | instskip(SKIP_1) | instid1(VALU_DEP_1)
	v_sub_nc_u32_e32 v7, v7, v8
	s_waitcnt lgkmcnt(0)
	v_mad_u64_u32 v[8:9], null, v7, s39, v[1:2]
	v_mov_b32_e32 v7, v10
	s_delay_alu instid0(VALU_DEP_2)
	v_mov_b32_e32 v1, v8
	s_cbranch_scc1 .LBB5_44
.LBB5_45:                               ;   in Loop: Header=BB5_9 Depth=1
	s_cbranch_execnz .LBB5_7
.LBB5_46:                               ;   in Loop: Header=BB5_9 Depth=1
	v_mul_hi_u32 v1, v0, s6
	s_and_not1_b32 vcc_lo, exec_lo, s4
	s_delay_alu instid0(VALU_DEP_1) | instskip(NEXT) | instid1(VALU_DEP_1)
	v_add_nc_u32_e32 v1, v1, v0
	v_lshrrev_b32_e32 v7, s7, v1
	s_delay_alu instid0(VALU_DEP_1) | instskip(NEXT) | instid1(VALU_DEP_1)
	v_mul_lo_u32 v1, v7, s5
	v_sub_nc_u32_e32 v0, v0, v1
	s_delay_alu instid0(VALU_DEP_1)
	v_mul_lo_u32 v1, v0, s20
	s_cbranch_vccnz .LBB5_7
; %bb.47:                               ;   in Loop: Header=BB5_9 Depth=1
	v_mul_hi_u32 v0, s9, v7
	s_delay_alu instid0(VALU_DEP_1) | instskip(NEXT) | instid1(VALU_DEP_1)
	v_add_nc_u32_e32 v0, v7, v0
	v_lshrrev_b32_e32 v0, s10, v0
	s_delay_alu instid0(VALU_DEP_1) | instskip(NEXT) | instid1(VALU_DEP_1)
	v_mul_lo_u32 v0, v0, s8
	v_sub_nc_u32_e32 v0, v7, v0
	s_delay_alu instid0(VALU_DEP_1) | instskip(NEXT) | instid1(VALU_DEP_1)
	v_mad_u64_u32 v[7:8], null, v0, s21, v[1:2]
	v_mov_b32_e32 v1, v7
	s_branch .LBB5_7
.LBB5_48:
	s_endpgm
.LBB5_49:
                                        ; implicit-def: $sgpr2_sgpr3
	s_branch .LBB5_4
	.section	.rodata,"a",@progbits
	.p2align	6, 0x0
	.amdhsa_kernel _ZN2at6native12_GLOBAL__N_143distribution_elementwise_grid_stride_kernelIfLi4EZNS0_9templates4cuda21uniform_and_transformIffPNS_17CUDAGeneratorImplEZZZNS4_14uniform_kernelIS7_EEvRNS_18TensorIteratorBaseEddT_ENKUlvE_clEvENKUlvE0_clEvEUlfE_EEvSA_T1_T2_EUlP25hiprandStatePhilox4_32_10E_ZNS1_27distribution_nullary_kernelIff15HIP_vector_typeIdLj2EES7_SJ_SE_EEvSA_SG_RKT3_T4_EUlifE0_EEvlNS_15PhiloxCudaStateESF_SG_
		.amdhsa_group_segment_fixed_size 0
		.amdhsa_private_segment_fixed_size 0
		.amdhsa_kernarg_size 592
		.amdhsa_user_sgpr_count 15
		.amdhsa_user_sgpr_dispatch_ptr 0
		.amdhsa_user_sgpr_queue_ptr 0
		.amdhsa_user_sgpr_kernarg_segment_ptr 1
		.amdhsa_user_sgpr_dispatch_id 0
		.amdhsa_user_sgpr_private_segment_size 0
		.amdhsa_wavefront_size32 1
		.amdhsa_uses_dynamic_stack 0
		.amdhsa_enable_private_segment 0
		.amdhsa_system_sgpr_workgroup_id_x 1
		.amdhsa_system_sgpr_workgroup_id_y 0
		.amdhsa_system_sgpr_workgroup_id_z 0
		.amdhsa_system_sgpr_workgroup_info 0
		.amdhsa_system_vgpr_workitem_id 0
		.amdhsa_next_free_vgpr 44
		.amdhsa_next_free_sgpr 56
		.amdhsa_reserve_vcc 1
		.amdhsa_float_round_mode_32 0
		.amdhsa_float_round_mode_16_64 0
		.amdhsa_float_denorm_mode_32 3
		.amdhsa_float_denorm_mode_16_64 3
		.amdhsa_dx10_clamp 1
		.amdhsa_ieee_mode 1
		.amdhsa_fp16_overflow 0
		.amdhsa_workgroup_processor_mode 1
		.amdhsa_memory_ordered 1
		.amdhsa_forward_progress 0
		.amdhsa_shared_vgpr_count 0
		.amdhsa_exception_fp_ieee_invalid_op 0
		.amdhsa_exception_fp_denorm_src 0
		.amdhsa_exception_fp_ieee_div_zero 0
		.amdhsa_exception_fp_ieee_overflow 0
		.amdhsa_exception_fp_ieee_underflow 0
		.amdhsa_exception_fp_ieee_inexact 0
		.amdhsa_exception_int_div_zero 0
	.end_amdhsa_kernel
	.section	.text._ZN2at6native12_GLOBAL__N_143distribution_elementwise_grid_stride_kernelIfLi4EZNS0_9templates4cuda21uniform_and_transformIffPNS_17CUDAGeneratorImplEZZZNS4_14uniform_kernelIS7_EEvRNS_18TensorIteratorBaseEddT_ENKUlvE_clEvENKUlvE0_clEvEUlfE_EEvSA_T1_T2_EUlP25hiprandStatePhilox4_32_10E_ZNS1_27distribution_nullary_kernelIff15HIP_vector_typeIdLj2EES7_SJ_SE_EEvSA_SG_RKT3_T4_EUlifE0_EEvlNS_15PhiloxCudaStateESF_SG_,"axG",@progbits,_ZN2at6native12_GLOBAL__N_143distribution_elementwise_grid_stride_kernelIfLi4EZNS0_9templates4cuda21uniform_and_transformIffPNS_17CUDAGeneratorImplEZZZNS4_14uniform_kernelIS7_EEvRNS_18TensorIteratorBaseEddT_ENKUlvE_clEvENKUlvE0_clEvEUlfE_EEvSA_T1_T2_EUlP25hiprandStatePhilox4_32_10E_ZNS1_27distribution_nullary_kernelIff15HIP_vector_typeIdLj2EES7_SJ_SE_EEvSA_SG_RKT3_T4_EUlifE0_EEvlNS_15PhiloxCudaStateESF_SG_,comdat
.Lfunc_end5:
	.size	_ZN2at6native12_GLOBAL__N_143distribution_elementwise_grid_stride_kernelIfLi4EZNS0_9templates4cuda21uniform_and_transformIffPNS_17CUDAGeneratorImplEZZZNS4_14uniform_kernelIS7_EEvRNS_18TensorIteratorBaseEddT_ENKUlvE_clEvENKUlvE0_clEvEUlfE_EEvSA_T1_T2_EUlP25hiprandStatePhilox4_32_10E_ZNS1_27distribution_nullary_kernelIff15HIP_vector_typeIdLj2EES7_SJ_SE_EEvSA_SG_RKT3_T4_EUlifE0_EEvlNS_15PhiloxCudaStateESF_SG_, .Lfunc_end5-_ZN2at6native12_GLOBAL__N_143distribution_elementwise_grid_stride_kernelIfLi4EZNS0_9templates4cuda21uniform_and_transformIffPNS_17CUDAGeneratorImplEZZZNS4_14uniform_kernelIS7_EEvRNS_18TensorIteratorBaseEddT_ENKUlvE_clEvENKUlvE0_clEvEUlfE_EEvSA_T1_T2_EUlP25hiprandStatePhilox4_32_10E_ZNS1_27distribution_nullary_kernelIff15HIP_vector_typeIdLj2EES7_SJ_SE_EEvSA_SG_RKT3_T4_EUlifE0_EEvlNS_15PhiloxCudaStateESF_SG_
                                        ; -- End function
	.section	.AMDGPU.csdata,"",@progbits
; Kernel info:
; codeLenInByte = 3980
; NumSgprs: 58
; NumVgprs: 44
; ScratchSize: 0
; MemoryBound: 0
; FloatMode: 240
; IeeeMode: 1
; LDSByteSize: 0 bytes/workgroup (compile time only)
; SGPRBlocks: 7
; VGPRBlocks: 5
; NumSGPRsForWavesPerEU: 58
; NumVGPRsForWavesPerEU: 44
; Occupancy: 16
; WaveLimiterHint : 1
; COMPUTE_PGM_RSRC2:SCRATCH_EN: 0
; COMPUTE_PGM_RSRC2:USER_SGPR: 15
; COMPUTE_PGM_RSRC2:TRAP_HANDLER: 0
; COMPUTE_PGM_RSRC2:TGID_X_EN: 1
; COMPUTE_PGM_RSRC2:TGID_Y_EN: 0
; COMPUTE_PGM_RSRC2:TGID_Z_EN: 0
; COMPUTE_PGM_RSRC2:TIDIG_COMP_CNT: 0
	.section	.text._ZN2at6native12_GLOBAL__N_143distribution_elementwise_grid_stride_kernelIfLi4EZNS0_9templates4cuda21uniform_and_transformIffPNS_17CUDAGeneratorImplEZZZNS4_14uniform_kernelIS7_EEvRNS_18TensorIteratorBaseEddT_ENKUlvE_clEvENKUlvE0_clEvEUlfE_EEvSA_T1_T2_EUlP25hiprandStatePhilox4_32_10E0_ZNS1_27distribution_nullary_kernelIff15HIP_vector_typeIfLj4EES7_SJ_SE_EEvSA_SG_RKT3_T4_EUlifE_EEvlNS_15PhiloxCudaStateESF_SG_,"axG",@progbits,_ZN2at6native12_GLOBAL__N_143distribution_elementwise_grid_stride_kernelIfLi4EZNS0_9templates4cuda21uniform_and_transformIffPNS_17CUDAGeneratorImplEZZZNS4_14uniform_kernelIS7_EEvRNS_18TensorIteratorBaseEddT_ENKUlvE_clEvENKUlvE0_clEvEUlfE_EEvSA_T1_T2_EUlP25hiprandStatePhilox4_32_10E0_ZNS1_27distribution_nullary_kernelIff15HIP_vector_typeIfLj4EES7_SJ_SE_EEvSA_SG_RKT3_T4_EUlifE_EEvlNS_15PhiloxCudaStateESF_SG_,comdat
	.globl	_ZN2at6native12_GLOBAL__N_143distribution_elementwise_grid_stride_kernelIfLi4EZNS0_9templates4cuda21uniform_and_transformIffPNS_17CUDAGeneratorImplEZZZNS4_14uniform_kernelIS7_EEvRNS_18TensorIteratorBaseEddT_ENKUlvE_clEvENKUlvE0_clEvEUlfE_EEvSA_T1_T2_EUlP25hiprandStatePhilox4_32_10E0_ZNS1_27distribution_nullary_kernelIff15HIP_vector_typeIfLj4EES7_SJ_SE_EEvSA_SG_RKT3_T4_EUlifE_EEvlNS_15PhiloxCudaStateESF_SG_ ; -- Begin function _ZN2at6native12_GLOBAL__N_143distribution_elementwise_grid_stride_kernelIfLi4EZNS0_9templates4cuda21uniform_and_transformIffPNS_17CUDAGeneratorImplEZZZNS4_14uniform_kernelIS7_EEvRNS_18TensorIteratorBaseEddT_ENKUlvE_clEvENKUlvE0_clEvEUlfE_EEvSA_T1_T2_EUlP25hiprandStatePhilox4_32_10E0_ZNS1_27distribution_nullary_kernelIff15HIP_vector_typeIfLj4EES7_SJ_SE_EEvSA_SG_RKT3_T4_EUlifE_EEvlNS_15PhiloxCudaStateESF_SG_
	.p2align	8
	.type	_ZN2at6native12_GLOBAL__N_143distribution_elementwise_grid_stride_kernelIfLi4EZNS0_9templates4cuda21uniform_and_transformIffPNS_17CUDAGeneratorImplEZZZNS4_14uniform_kernelIS7_EEvRNS_18TensorIteratorBaseEddT_ENKUlvE_clEvENKUlvE0_clEvEUlfE_EEvSA_T1_T2_EUlP25hiprandStatePhilox4_32_10E0_ZNS1_27distribution_nullary_kernelIff15HIP_vector_typeIfLj4EES7_SJ_SE_EEvSA_SG_RKT3_T4_EUlifE_EEvlNS_15PhiloxCudaStateESF_SG_,@function
_ZN2at6native12_GLOBAL__N_143distribution_elementwise_grid_stride_kernelIfLi4EZNS0_9templates4cuda21uniform_and_transformIffPNS_17CUDAGeneratorImplEZZZNS4_14uniform_kernelIS7_EEvRNS_18TensorIteratorBaseEddT_ENKUlvE_clEvENKUlvE0_clEvEUlfE_EEvSA_T1_T2_EUlP25hiprandStatePhilox4_32_10E0_ZNS1_27distribution_nullary_kernelIff15HIP_vector_typeIfLj4EES7_SJ_SE_EEvSA_SG_RKT3_T4_EUlifE_EEvlNS_15PhiloxCudaStateESF_SG_: ; @_ZN2at6native12_GLOBAL__N_143distribution_elementwise_grid_stride_kernelIfLi4EZNS0_9templates4cuda21uniform_and_transformIffPNS_17CUDAGeneratorImplEZZZNS4_14uniform_kernelIS7_EEvRNS_18TensorIteratorBaseEddT_ENKUlvE_clEvENKUlvE0_clEvEUlfE_EEvSA_T1_T2_EUlP25hiprandStatePhilox4_32_10E0_ZNS1_27distribution_nullary_kernelIff15HIP_vector_typeIfLj4EES7_SJ_SE_EEvSA_SG_RKT3_T4_EUlifE_EEvlNS_15PhiloxCudaStateESF_SG_
; %bb.0:
	s_clause 0x2
	s_load_b64 s[8:9], s[0:1], 0x10
	s_load_b128 s[4:7], s[0:1], 0x0
	s_load_b32 s2, s[0:1], 0x20
	s_waitcnt lgkmcnt(0)
	v_dual_mov_b32 v2, s8 :: v_dual_mov_b32 v3, s9
	v_dual_mov_b32 v12, s7 :: v_dual_mov_b32 v11, s6
	s_bitcmp0_b32 s2, 0
	s_mov_b32 s2, 0
	s_cbranch_scc1 .LBB6_2
; %bb.1:
	v_dual_mov_b32 v1, s8 :: v_dual_mov_b32 v2, s9
	v_dual_mov_b32 v4, s6 :: v_dual_mov_b32 v5, s7
	s_load_b64 s[6:7], s[0:1], 0x18
	flat_load_b64 v[2:3], v[1:2]
	flat_load_b64 v[11:12], v[4:5]
	s_waitcnt vmcnt(1) lgkmcnt(0)
	v_add_co_u32 v2, vcc_lo, v2, s6
	v_add_co_ci_u32_e32 v3, vcc_lo, s7, v3, vcc_lo
.LBB6_2:
	s_clause 0x1
	s_load_b32 s3, s[0:1], 0x54
	s_load_b32 s13, s[0:1], 0x48
	s_waitcnt lgkmcnt(0)
	s_and_b32 s12, s3, 0xffff
	s_add_u32 s6, s4, -1
	s_mul_i32 s10, s13, s12
	s_addc_u32 s3, s5, -1
	s_lshl_b32 s11, s10, 2
	s_cmp_lg_u64 s[2:3], 0
	s_cbranch_scc0 .LBB6_27
; %bb.3:
	v_cvt_f32_ubyte0_e32 v1, 0
	v_cvt_f32_u32_e32 v4, s11
	s_sub_u32 s8, 0, s11
	s_subb_u32 s9, 0, 0
	s_delay_alu instid0(VALU_DEP_1) | instskip(NEXT) | instid1(VALU_DEP_1)
	v_fmamk_f32 v1, v1, 0x4f800000, v4
	v_rcp_f32_e32 v1, v1
	s_waitcnt_depctr 0xfff
	v_mul_f32_e32 v1, 0x5f7ffffc, v1
	s_delay_alu instid0(VALU_DEP_1) | instskip(NEXT) | instid1(VALU_DEP_1)
	v_mul_f32_e32 v4, 0x2f800000, v1
	v_trunc_f32_e32 v4, v4
	s_delay_alu instid0(VALU_DEP_1) | instskip(SKIP_1) | instid1(VALU_DEP_2)
	v_fmamk_f32 v1, v4, 0xcf800000, v1
	v_cvt_u32_f32_e32 v4, v4
	v_cvt_u32_f32_e32 v1, v1
	s_delay_alu instid0(VALU_DEP_2) | instskip(NEXT) | instid1(VALU_DEP_2)
	v_readfirstlane_b32 s2, v4
	v_readfirstlane_b32 s7, v1
	s_delay_alu instid0(VALU_DEP_2) | instskip(NEXT) | instid1(VALU_DEP_1)
	s_mul_i32 s14, s8, s2
	s_mul_hi_u32 s17, s8, s7
	s_mul_i32 s16, s9, s7
	s_add_i32 s14, s17, s14
	s_mul_i32 s18, s8, s7
	s_add_i32 s14, s14, s16
	s_mul_hi_u32 s17, s7, s18
	s_mul_hi_u32 s19, s2, s18
	s_mul_i32 s16, s2, s18
	s_mul_hi_u32 s18, s7, s14
	s_mul_i32 s7, s7, s14
	s_mul_hi_u32 s20, s2, s14
	s_add_u32 s7, s17, s7
	s_addc_u32 s17, 0, s18
	s_add_u32 s7, s7, s16
	s_mul_i32 s14, s2, s14
	s_addc_u32 s7, s17, s19
	s_addc_u32 s16, s20, 0
	s_add_u32 s7, s7, s14
	s_addc_u32 s14, 0, s16
	v_add_co_u32 v1, s7, v1, s7
	s_delay_alu instid0(VALU_DEP_1) | instskip(SKIP_1) | instid1(VALU_DEP_1)
	s_cmp_lg_u32 s7, 0
	s_addc_u32 s2, s2, s14
	v_readfirstlane_b32 s7, v1
	s_mul_i32 s14, s8, s2
	s_delay_alu instid0(VALU_DEP_1)
	s_mul_hi_u32 s16, s8, s7
	s_mul_i32 s9, s9, s7
	s_add_i32 s14, s16, s14
	s_mul_i32 s8, s8, s7
	s_add_i32 s14, s14, s9
	s_mul_hi_u32 s16, s2, s8
	s_mul_i32 s17, s2, s8
	s_mul_hi_u32 s8, s7, s8
	s_mul_hi_u32 s18, s7, s14
	s_mul_i32 s7, s7, s14
	s_mul_hi_u32 s9, s2, s14
	s_add_u32 s7, s8, s7
	s_addc_u32 s8, 0, s18
	s_add_u32 s7, s7, s17
	s_mul_i32 s14, s2, s14
	s_addc_u32 s7, s8, s16
	s_addc_u32 s8, s9, 0
	s_add_u32 s7, s7, s14
	s_addc_u32 s8, 0, s8
	v_add_co_u32 v1, s7, v1, s7
	s_delay_alu instid0(VALU_DEP_1) | instskip(SKIP_2) | instid1(VALU_DEP_1)
	s_cmp_lg_u32 s7, 0
	s_addc_u32 s7, s2, s8
	s_ashr_i32 s8, s3, 31
	v_readfirstlane_b32 s14, v1
	s_add_u32 s2, s6, s8
	s_mov_b32 s9, s8
	s_addc_u32 s3, s3, s8
	s_delay_alu instid0(SALU_CYCLE_1) | instskip(NEXT) | instid1(SALU_CYCLE_1)
	s_xor_b64 s[2:3], s[2:3], s[8:9]
	s_mul_i32 s17, s2, s7
	s_mul_hi_u32 s18, s2, s14
	s_mul_hi_u32 s16, s2, s7
	;; [unrolled: 1-line block ×3, first 2 shown]
	s_mul_i32 s14, s3, s14
	s_add_u32 s17, s18, s17
	s_addc_u32 s16, 0, s16
	s_mul_hi_u32 s19, s3, s7
	s_add_u32 s14, s17, s14
	s_mul_i32 s7, s3, s7
	s_addc_u32 s14, s16, s20
	s_addc_u32 s16, s19, 0
	s_add_u32 s7, s14, s7
	s_addc_u32 s14, 0, s16
	s_mul_i32 s17, s11, s7
	s_add_u32 s16, s7, 1
	v_sub_co_u32 v1, s2, s2, s17
	s_mul_hi_u32 s17, s11, s7
	s_addc_u32 s18, s14, 0
	s_mul_i32 s19, s11, s14
	s_delay_alu instid0(VALU_DEP_1)
	v_sub_co_u32 v4, s20, v1, s11
	s_add_u32 s21, s7, 2
	s_addc_u32 s22, s14, 0
	s_add_i32 s17, s17, s19
	s_cmp_lg_u32 s2, 0
	v_readfirstlane_b32 s2, v4
	s_subb_u32 s3, s3, s17
	s_cmp_lg_u32 s20, 0
	s_subb_u32 s17, s3, 0
	s_delay_alu instid0(VALU_DEP_1) | instskip(SKIP_4) | instid1(SALU_CYCLE_1)
	s_cmp_ge_u32 s2, s11
	s_cselect_b32 s2, -1, 0
	s_cmp_eq_u32 s17, 0
	v_readfirstlane_b32 s17, v1
	s_cselect_b32 s2, s2, -1
	s_cmp_lg_u32 s2, 0
	s_cselect_b32 s2, s21, s16
	s_cselect_b32 s16, s22, s18
	s_cmp_ge_u32 s17, s11
	s_cselect_b32 s17, -1, 0
	s_cmp_eq_u32 s3, 0
	s_cselect_b32 s3, s17, -1
	s_delay_alu instid0(SALU_CYCLE_1) | instskip(SKIP_2) | instid1(SALU_CYCLE_1)
	s_cmp_lg_u32 s3, 0
	s_cselect_b32 s3, s16, s14
	s_cselect_b32 s2, s2, s7
	s_xor_b64 s[2:3], s[2:3], s[8:9]
	s_delay_alu instid0(SALU_CYCLE_1)
	s_sub_u32 s2, s2, s8
	s_subb_u32 s3, s3, s8
	s_cbranch_execnz .LBB6_5
.LBB6_4:
	v_cvt_f32_u32_e32 v1, s11
	s_sub_i32 s3, 0, s11
	s_delay_alu instid0(VALU_DEP_1) | instskip(SKIP_2) | instid1(VALU_DEP_1)
	v_rcp_iflag_f32_e32 v1, v1
	s_waitcnt_depctr 0xfff
	v_mul_f32_e32 v1, 0x4f7ffffe, v1
	v_cvt_u32_f32_e32 v1, v1
	s_delay_alu instid0(VALU_DEP_1) | instskip(NEXT) | instid1(VALU_DEP_1)
	v_readfirstlane_b32 s2, v1
	s_mul_i32 s3, s3, s2
	s_delay_alu instid0(SALU_CYCLE_1) | instskip(NEXT) | instid1(SALU_CYCLE_1)
	s_mul_hi_u32 s3, s2, s3
	s_add_i32 s2, s2, s3
	s_delay_alu instid0(SALU_CYCLE_1) | instskip(NEXT) | instid1(SALU_CYCLE_1)
	s_mul_hi_u32 s2, s6, s2
	s_mul_i32 s3, s2, s11
	s_delay_alu instid0(SALU_CYCLE_1)
	s_sub_i32 s3, s6, s3
	s_add_i32 s6, s2, 1
	s_sub_i32 s7, s3, s11
	s_cmp_ge_u32 s3, s11
	s_cselect_b32 s2, s6, s2
	s_cselect_b32 s3, s7, s3
	s_add_i32 s6, s2, 1
	s_cmp_ge_u32 s3, s11
	s_mov_b32 s3, 0
	s_cselect_b32 s2, s6, s2
.LBB6_5:
	v_mov_b32_e32 v1, 0
	s_add_u32 s2, s2, 1
	s_addc_u32 s3, s3, 0
	s_mul_hi_u32 s6, s10, s2
	s_mul_i32 s3, s10, s3
	v_mad_u64_u32 v[13:14], null, s12, s15, v[0:1]
	s_mul_hi_u32 s7, s13, s12
	s_add_i32 s3, s6, s3
	s_mul_i32 s7, s7, s2
	s_mul_i32 s2, s10, s2
	s_add_i32 s3, s3, s7
	s_delay_alu instid0(SALU_CYCLE_1)
	s_lshl_b64 s[6:7], s[2:3], 2
	s_mov_b32 s2, exec_lo
	v_cmpx_gt_i64_e64 s[6:7], v[13:14]
	s_cbranch_execz .LBB6_26
; %bb.6:
	v_alignbit_b32 v17, v3, v2, 2
	v_mad_u64_u32 v[6:7], null, 0xcd9e8d57, v13, 0
	v_lshrrev_b32_e32 v18, 2, v3
	s_waitcnt vmcnt(0)
	v_dual_mov_b32 v15, v12 :: v_dual_add_nc_u32 v30, 0x8ff34781, v11
	v_mad_u64_u32 v[4:5], null, 0xd2511f53, v17, 0
	v_add_co_u32 v20, null, 0x9e3779b9, v11
	v_xor3_b32 v3, v11, v7, v18
	s_delay_alu instid0(VALU_DEP_4) | instskip(SKIP_2) | instid1(VALU_DEP_4)
	v_add_co_u32 v19, null, 0xbb67ae85, v15
	v_add_co_u32 v21, null, 0x3c6ef372, v11
	v_xor_b32_e32 v1, v5, v12
	v_mad_u64_u32 v[7:8], null, 0xd2511f53, v3, 0
	v_add_co_u32 v22, null, 0x76cf5d0a, v15
	s_delay_alu instid0(VALU_DEP_3) | instskip(SKIP_2) | instid1(VALU_DEP_3)
	v_xor_b32_e32 v1, v1, v14
	v_add_co_u32 v23, null, 0x32370b8f, v15
	v_add_co_u32 v24, null, 0xdaa66d2b, v11
	v_mad_u64_u32 v[9:10], null, 0xcd9e8d57, v1, 0
	v_xor3_b32 v1, v19, v8, v4
	v_add_co_u32 v25, null, 0x78dde6e4, v11
	v_add_co_u32 v26, null, 0xed9eba14, v15
	s_delay_alu instid0(VALU_DEP_3) | instskip(SKIP_3) | instid1(VALU_DEP_3)
	v_mad_u64_u32 v[3:4], null, 0xcd9e8d57, v1, 0
	v_xor3_b32 v8, v20, v10, v6
	v_add_co_u32 v27, null, 0xa9066899, v15
	v_add_co_u32 v28, null, 0x1715609d, v11
	v_mad_u64_u32 v[5:6], null, 0xd2511f53, v8, 0
	v_xor3_b32 v1, v21, v4, v9
	v_and_b32_e32 v29, 3, v2
	v_add_co_u32 v33, null, 0xb54cda56, v11
	v_add_co_u32 v34, null, 0x646e171e, v15
	v_xor3_b32 v4, v22, v6, v7
	v_mad_u64_u32 v[6:7], null, 0xd2511f53, v1, 0
	v_add_co_u32 v36, null, 0x1fd5c5a3, v15
	s_delay_alu instid0(VALU_DEP_3) | instskip(SKIP_1) | instid1(VALU_DEP_4)
	v_mad_u64_u32 v[8:9], null, 0xcd9e8d57, v4, 0
	v_add_co_u32 v32, null, 0x5384540f, v11
	v_xor3_b32 v1, v23, v7, v5
	s_clause 0x1
	s_load_b64 s[8:9], s[0:1], 0x30
	s_load_b128 s[0:3], s[0:1], 0x38
	v_add_co_u32 v35, null, 0xf1bbcdc8, v11
	s_delay_alu instid0(VALU_DEP_4) | instskip(SKIP_3) | instid1(VALU_DEP_2)
	v_xor3_b32 v5, v24, v9, v3
	v_mad_u64_u32 v[3:4], null, 0xcd9e8d57, v1, 0
	s_mul_i32 s17, s13, 3
	s_add_i32 s19, s15, s13
	v_mad_u64_u32 v[9:10], null, 0xd2511f53, v5, 0
	s_add_i32 s17, s15, s17
	v_add_co_u32 v38, null, 0xdb3d7428, v15
	s_delay_alu instid0(VALU_DEP_3) | instskip(SKIP_2) | instid1(VALU_DEP_4)
	v_xor3_b32 v1, v25, v4, v8
	s_lshl_b32 s18, s13, 1
	v_add_nc_u32_e32 v31, 0x96a522ad, v12
	v_xor3_b32 v8, v26, v10, v6
	v_mov_b32_e32 v37, v13
	v_mad_u64_u32 v[4:5], null, 0xd2511f53, v1, 0
	s_waitcnt lgkmcnt(0)
	s_mul_i32 s13, s13, s0
	v_mad_u64_u32 v[6:7], null, 0xcd9e8d57, v8, 0
	v_mov_b32_e32 v43, v14
	s_mul_i32 s13, s13, s12
	s_mov_b32 s14, 0
	s_delay_alu instid0(VALU_DEP_3) | instskip(SKIP_1) | instid1(VALU_DEP_3)
	v_xor3_b32 v5, v27, v5, v9
	s_lshl_b32 s16, s10, 1
	v_xor3_b32 v3, v28, v7, v3
	s_delay_alu instid0(VALU_DEP_2) | instskip(NEXT) | instid1(VALU_DEP_2)
	v_mad_u64_u32 v[1:2], null, 0xcd9e8d57, v5, 0
	v_mad_u64_u32 v[7:8], null, 0xd2511f53, v3, 0
	s_delay_alu instid0(VALU_DEP_2) | instskip(NEXT) | instid1(VALU_DEP_2)
	v_xor3_b32 v2, v33, v2, v6
	v_xor3_b32 v6, v34, v8, v4
	s_delay_alu instid0(VALU_DEP_4) | instskip(NEXT) | instid1(VALU_DEP_3)
	v_mad_u64_u32 v[3:4], null, s15, s12, v[0:1]
	v_mad_u64_u32 v[4:5], null, 0xd2511f53, v2, 0
	s_delay_alu instid0(VALU_DEP_3) | instskip(SKIP_1) | instid1(VALU_DEP_3)
	v_mad_u64_u32 v[8:9], null, 0xcd9e8d57, v6, 0
	s_add_i32 s15, s15, s18
	v_mul_lo_u32 v39, s0, v3
	s_delay_alu instid0(VALU_DEP_3) | instskip(NEXT) | instid1(VALU_DEP_3)
	v_xor3_b32 v2, v36, v5, v7
	v_xor3_b32 v1, v32, v9, v1
	s_delay_alu instid0(VALU_DEP_2) | instskip(NEXT) | instid1(VALU_DEP_2)
	v_mad_u64_u32 v[5:6], null, 0xcd9e8d57, v2, 0
	v_mad_u64_u32 v[9:10], null, 0xd2511f53, v1, 0
	;; [unrolled: 1-line block ×4, first 2 shown]
	s_delay_alu instid0(VALU_DEP_4) | instskip(NEXT) | instid1(VALU_DEP_4)
	v_xor3_b32 v1, v35, v6, v8
	v_xor3_b32 v4, v38, v10, v4
	s_delay_alu instid0(VALU_DEP_4) | instskip(NEXT) | instid1(VALU_DEP_3)
	v_mul_lo_u32 v42, s0, v15
	v_mad_u64_u32 v[6:7], null, s15, s12, v[0:1]
	v_mad_u64_u32 v[7:8], null, 0xd2511f53, v1, 0
	s_delay_alu instid0(VALU_DEP_4) | instskip(SKIP_2) | instid1(VALU_DEP_4)
	v_mad_u64_u32 v[1:2], null, 0xcd9e8d57, v4, 0
	v_mul_lo_u32 v40, s0, v40
	s_lshl_b32 s12, s13, 2
	v_mul_lo_u32 v41, s0, v6
	s_mul_i32 s0, s10, 3
	s_delay_alu instid0(VALU_DEP_4) | instskip(SKIP_1) | instid1(VALU_DEP_4)
	v_mov_b32_e32 v3, v7
	s_mov_b32 s13, 0
	v_xor3_b32 v0, v2, v5, v30
	v_xor3_b32 v2, v8, v9, v31
	s_branch .LBB6_8
.LBB6_7:                                ;   in Loop: Header=BB6_8 Depth=1
	s_or_b32 exec_lo, exec_lo, s15
	v_add_co_u32 v13, vcc_lo, v13, s11
	v_add_co_ci_u32_e32 v14, vcc_lo, 0, v14, vcc_lo
	v_mov_b32_e32 v7, v15
	v_dual_mov_b32 v0, v4 :: v_dual_mov_b32 v1, v5
	s_delay_alu instid0(VALU_DEP_3) | instskip(NEXT) | instid1(VALU_DEP_3)
	v_cmp_le_i64_e32 vcc_lo, s[6:7], v[13:14]
	v_dual_mov_b32 v2, v6 :: v_dual_mov_b32 v3, v7
	s_add_i32 s13, s13, s12
	s_waitcnt_vscnt null, 0x0
	s_barrier
	s_or_b32 s14, vcc_lo, s14
	buffer_gl0_inv
	s_and_not1_b32 exec_lo, exec_lo, s14
	s_cbranch_execz .LBB6_26
.LBB6_8:                                ; =>This Inner Loop Header: Depth=1
	v_add_co_u32 v17, vcc_lo, v17, 1
	s_delay_alu instid0(VALU_DEP_1) | instskip(SKIP_2) | instid1(VALU_DEP_1)
	v_cndmask_b32_e64 v4, 0, 1, vcc_lo
	v_add_co_ci_u32_e32 v18, vcc_lo, 0, v18, vcc_lo
	s_mov_b32 s15, exec_lo
	v_cmp_eq_u32_e32 vcc_lo, 0, v18
	s_delay_alu instid0(VALU_DEP_3) | instskip(NEXT) | instid1(VALU_DEP_1)
	v_cndmask_b32_e32 v4, 0, v4, vcc_lo
	v_add_nc_u32_e32 v37, v4, v37
	s_delay_alu instid0(VALU_DEP_1) | instskip(SKIP_2) | instid1(VALU_DEP_2)
	v_cmp_eq_u32_e32 vcc_lo, 0, v37
	v_cndmask_b32_e32 v4, 0, v4, vcc_lo
	v_mad_u64_u32 v[6:7], null, 0xcd9e8d57, v37, 0
	v_add_nc_u32_e32 v43, v4, v43
	v_mad_u64_u32 v[4:5], null, 0xd2511f53, v17, 0
	s_delay_alu instid0(VALU_DEP_3) | instskip(NEXT) | instid1(VALU_DEP_2)
	v_xor3_b32 v9, v7, v11, v18
	v_xor_b32_e32 v5, v5, v12
	s_delay_alu instid0(VALU_DEP_2) | instskip(NEXT) | instid1(VALU_DEP_2)
	v_mad_u64_u32 v[7:8], null, 0xd2511f53, v9, 0
	v_xor_b32_e32 v5, v43, v5
	s_delay_alu instid0(VALU_DEP_2) | instskip(NEXT) | instid1(VALU_DEP_2)
	v_xor3_b32 v8, v19, v8, v4
	v_mad_u64_u32 v[9:10], null, 0xcd9e8d57, v5, 0
	s_delay_alu instid0(VALU_DEP_2) | instskip(NEXT) | instid1(VALU_DEP_2)
	v_mad_u64_u32 v[4:5], null, 0xcd9e8d57, v8, 0
	v_xor3_b32 v6, v20, v10, v6
	s_delay_alu instid0(VALU_DEP_2) | instskip(NEXT) | instid1(VALU_DEP_2)
	v_xor3_b32 v8, v21, v5, v9
	v_mad_u64_u32 v[15:16], null, 0xd2511f53, v6, 0
	s_delay_alu instid0(VALU_DEP_2) | instskip(NEXT) | instid1(VALU_DEP_2)
	v_mad_u64_u32 v[5:6], null, 0xd2511f53, v8, 0
	v_xor3_b32 v9, v22, v16, v7
	s_delay_alu instid0(VALU_DEP_2) | instskip(NEXT) | instid1(VALU_DEP_2)
	v_xor3_b32 v6, v23, v6, v15
	v_mad_u64_u32 v[7:8], null, 0xcd9e8d57, v9, 0
	s_delay_alu instid0(VALU_DEP_1) | instskip(NEXT) | instid1(VALU_DEP_3)
	v_xor3_b32 v4, v24, v8, v4
	v_mad_u64_u32 v[8:9], null, 0xcd9e8d57, v6, 0
	s_delay_alu instid0(VALU_DEP_2) | instskip(NEXT) | instid1(VALU_DEP_2)
	v_mad_u64_u32 v[15:16], null, 0xd2511f53, v4, 0
	v_xor3_b32 v6, v25, v9, v7
	s_delay_alu instid0(VALU_DEP_2) | instskip(NEXT) | instid1(VALU_DEP_2)
	v_xor3_b32 v9, v26, v16, v5
	v_mad_u64_u32 v[4:5], null, 0xd2511f53, v6, 0
	s_delay_alu instid0(VALU_DEP_2) | instskip(NEXT) | instid1(VALU_DEP_2)
	v_mad_u64_u32 v[6:7], null, 0xcd9e8d57, v9, 0
	v_xor3_b32 v5, v27, v5, v15
	s_delay_alu instid0(VALU_DEP_2) | instskip(NEXT) | instid1(VALU_DEP_2)
	;; [unrolled: 6-line block ×6, first 2 shown]
	v_xor3_b32 v4, v6, v7, v30
	v_mov_b32_e32 v6, v10
	v_cmpx_lt_i32_e32 1, v29
	s_xor_b32 s15, exec_lo, s15
	s_cbranch_execnz .LBB6_18
; %bb.9:                                ;   in Loop: Header=BB6_8 Depth=1
	s_and_not1_saveexec_b32 s15, s15
	s_cbranch_execnz .LBB6_23
.LBB6_10:                               ;   in Loop: Header=BB6_8 Depth=1
	s_or_b32 exec_lo, exec_lo, s15
	s_delay_alu instid0(SALU_CYCLE_1)
	s_mov_b32 s15, exec_lo
	v_cmpx_gt_i64_e64 s[4:5], v[13:14]
	s_cbranch_execz .LBB6_12
.LBB6_11:                               ;   in Loop: Header=BB6_8 Depth=1
	v_cvt_f32_u32_e32 v0, v0
	s_delay_alu instid0(VALU_DEP_1) | instskip(NEXT) | instid1(VALU_DEP_1)
	v_dual_fmaak_f32 v0, 0x2f800000, v0, 0x2f800000 :: v_dual_add_nc_u32 v7, s13, v39
	v_ashrrev_i32_e32 v8, 31, v7
	v_add_co_u32 v7, vcc_lo, s8, v7
	s_delay_alu instid0(VALU_DEP_3) | instskip(NEXT) | instid1(VALU_DEP_3)
	v_fma_f32 v0, s1, v0, s2
	v_add_co_ci_u32_e32 v8, vcc_lo, s9, v8, vcc_lo
	s_delay_alu instid0(VALU_DEP_2)
	v_cmp_eq_f32_e32 vcc_lo, s3, v0
	v_cndmask_b32_e64 v0, v0, s2, vcc_lo
	global_store_b32 v[7:8], v0, off
.LBB6_12:                               ;   in Loop: Header=BB6_8 Depth=1
	s_or_b32 exec_lo, exec_lo, s15
	v_add_co_u32 v7, vcc_lo, s10, v13
	v_add_co_ci_u32_e32 v8, vcc_lo, 0, v14, vcc_lo
	s_mov_b32 s15, exec_lo
	s_delay_alu instid0(VALU_DEP_1)
	v_cmpx_gt_i64_e64 s[4:5], v[7:8]
	s_cbranch_execz .LBB6_14
; %bb.13:                               ;   in Loop: Header=BB6_8 Depth=1
	v_cvt_f32_u32_e32 v0, v1
	s_delay_alu instid0(VALU_DEP_1) | instskip(NEXT) | instid1(VALU_DEP_1)
	v_dual_fmaak_f32 v0, 0x2f800000, v0, 0x2f800000 :: v_dual_add_nc_u32 v1, s13, v42
	v_ashrrev_i32_e32 v7, 31, v1
	s_delay_alu instid0(VALU_DEP_2) | instskip(SKIP_1) | instid1(VALU_DEP_3)
	v_fma_f32 v8, s1, v0, s2
	v_add_co_u32 v0, vcc_lo, s8, v1
	v_add_co_ci_u32_e32 v1, vcc_lo, s9, v7, vcc_lo
	s_delay_alu instid0(VALU_DEP_3)
	v_cmp_eq_f32_e32 vcc_lo, s3, v8
	v_cndmask_b32_e64 v7, v8, s2, vcc_lo
	global_store_b32 v[0:1], v7, off
.LBB6_14:                               ;   in Loop: Header=BB6_8 Depth=1
	s_or_b32 exec_lo, exec_lo, s15
	v_add_co_u32 v0, vcc_lo, s16, v13
	v_add_co_ci_u32_e32 v1, vcc_lo, 0, v14, vcc_lo
	s_mov_b32 s15, exec_lo
	s_delay_alu instid0(VALU_DEP_1)
	v_cmpx_gt_i64_e64 s[4:5], v[0:1]
	s_cbranch_execz .LBB6_16
; %bb.15:                               ;   in Loop: Header=BB6_8 Depth=1
	v_cvt_f32_u32_e32 v0, v2
	s_delay_alu instid0(VALU_DEP_1) | instskip(NEXT) | instid1(VALU_DEP_1)
	v_dual_fmaak_f32 v0, 0x2f800000, v0, 0x2f800000 :: v_dual_add_nc_u32 v1, s13, v41
	v_ashrrev_i32_e32 v2, 31, v1
	s_delay_alu instid0(VALU_DEP_2) | instskip(SKIP_1) | instid1(VALU_DEP_3)
	v_fma_f32 v7, s1, v0, s2
	v_add_co_u32 v0, vcc_lo, s8, v1
	v_add_co_ci_u32_e32 v1, vcc_lo, s9, v2, vcc_lo
	s_delay_alu instid0(VALU_DEP_3)
	v_cmp_eq_f32_e32 vcc_lo, s3, v7
	v_cndmask_b32_e64 v2, v7, s2, vcc_lo
	global_store_b32 v[0:1], v2, off
.LBB6_16:                               ;   in Loop: Header=BB6_8 Depth=1
	s_or_b32 exec_lo, exec_lo, s15
	v_add_co_u32 v0, vcc_lo, s0, v13
	v_add_co_ci_u32_e32 v1, vcc_lo, 0, v14, vcc_lo
	s_mov_b32 s15, exec_lo
	s_delay_alu instid0(VALU_DEP_1)
	v_cmpx_gt_i64_e64 s[4:5], v[0:1]
	s_cbranch_execz .LBB6_7
; %bb.17:                               ;   in Loop: Header=BB6_8 Depth=1
	v_cvt_f32_u32_e32 v0, v3
	v_add_nc_u32_e32 v1, s13, v40
	s_delay_alu instid0(VALU_DEP_2) | instskip(NEXT) | instid1(VALU_DEP_2)
	v_fmaak_f32 v0, 0x2f800000, v0, 0x2f800000
	v_ashrrev_i32_e32 v2, 31, v1
	s_delay_alu instid0(VALU_DEP_2) | instskip(SKIP_1) | instid1(VALU_DEP_3)
	v_fma_f32 v3, s1, v0, s2
	v_add_co_u32 v0, vcc_lo, s8, v1
	v_add_co_ci_u32_e32 v1, vcc_lo, s9, v2, vcc_lo
	s_delay_alu instid0(VALU_DEP_3)
	v_cmp_eq_f32_e32 vcc_lo, s3, v3
	v_cndmask_b32_e64 v2, v3, s2, vcc_lo
	global_store_b32 v[0:1], v2, off
	s_branch .LBB6_7
.LBB6_18:                               ;   in Loop: Header=BB6_8 Depth=1
	s_mov_b32 s17, exec_lo
	v_cmpx_lt_i32_e32 2, v29
	s_xor_b32 s17, exec_lo, s17
; %bb.19:                               ;   in Loop: Header=BB6_8 Depth=1
	v_dual_mov_b32 v7, v3 :: v_dual_mov_b32 v8, v4
	v_mov_b32_e32 v9, v5
	s_delay_alu instid0(VALU_DEP_2) | instskip(NEXT) | instid1(VALU_DEP_2)
	v_dual_mov_b32 v0, v7 :: v_dual_mov_b32 v1, v8
	v_dual_mov_b32 v2, v9 :: v_dual_mov_b32 v3, v10
; %bb.20:                               ;   in Loop: Header=BB6_8 Depth=1
	s_and_not1_saveexec_b32 s17, s17
; %bb.21:                               ;   in Loop: Header=BB6_8 Depth=1
	s_delay_alu instid0(VALU_DEP_1)
	v_dual_mov_b32 v0, v2 :: v_dual_mov_b32 v1, v3
	v_dual_mov_b32 v2, v4 :: v_dual_mov_b32 v3, v5
; %bb.22:                               ;   in Loop: Header=BB6_8 Depth=1
	s_or_b32 exec_lo, exec_lo, s17
	s_and_not1_saveexec_b32 s15, s15
	s_cbranch_execz .LBB6_10
.LBB6_23:                               ;   in Loop: Header=BB6_8 Depth=1
	s_mov_b32 s17, exec_lo
	v_cmpx_eq_u32_e32 1, v29
; %bb.24:                               ;   in Loop: Header=BB6_8 Depth=1
	v_dual_mov_b32 v0, v1 :: v_dual_mov_b32 v1, v2
	v_dual_mov_b32 v2, v3 :: v_dual_mov_b32 v3, v4
; %bb.25:                               ;   in Loop: Header=BB6_8 Depth=1
	s_or_b32 exec_lo, exec_lo, s17
	s_delay_alu instid0(SALU_CYCLE_1) | instskip(NEXT) | instid1(SALU_CYCLE_1)
	s_or_b32 exec_lo, exec_lo, s15
	s_mov_b32 s15, exec_lo
	v_cmpx_gt_i64_e64 s[4:5], v[13:14]
	s_cbranch_execnz .LBB6_11
	s_branch .LBB6_12
.LBB6_26:
	s_endpgm
.LBB6_27:
                                        ; implicit-def: $sgpr2_sgpr3
	s_branch .LBB6_4
	.section	.rodata,"a",@progbits
	.p2align	6, 0x0
	.amdhsa_kernel _ZN2at6native12_GLOBAL__N_143distribution_elementwise_grid_stride_kernelIfLi4EZNS0_9templates4cuda21uniform_and_transformIffPNS_17CUDAGeneratorImplEZZZNS4_14uniform_kernelIS7_EEvRNS_18TensorIteratorBaseEddT_ENKUlvE_clEvENKUlvE0_clEvEUlfE_EEvSA_T1_T2_EUlP25hiprandStatePhilox4_32_10E0_ZNS1_27distribution_nullary_kernelIff15HIP_vector_typeIfLj4EES7_SJ_SE_EEvSA_SG_RKT3_T4_EUlifE_EEvlNS_15PhiloxCudaStateESF_SG_
		.amdhsa_group_segment_fixed_size 0
		.amdhsa_private_segment_fixed_size 0
		.amdhsa_kernarg_size 328
		.amdhsa_user_sgpr_count 15
		.amdhsa_user_sgpr_dispatch_ptr 0
		.amdhsa_user_sgpr_queue_ptr 0
		.amdhsa_user_sgpr_kernarg_segment_ptr 1
		.amdhsa_user_sgpr_dispatch_id 0
		.amdhsa_user_sgpr_private_segment_size 0
		.amdhsa_wavefront_size32 1
		.amdhsa_uses_dynamic_stack 0
		.amdhsa_enable_private_segment 0
		.amdhsa_system_sgpr_workgroup_id_x 1
		.amdhsa_system_sgpr_workgroup_id_y 0
		.amdhsa_system_sgpr_workgroup_id_z 0
		.amdhsa_system_sgpr_workgroup_info 0
		.amdhsa_system_vgpr_workitem_id 0
		.amdhsa_next_free_vgpr 44
		.amdhsa_next_free_sgpr 23
		.amdhsa_reserve_vcc 1
		.amdhsa_float_round_mode_32 0
		.amdhsa_float_round_mode_16_64 0
		.amdhsa_float_denorm_mode_32 3
		.amdhsa_float_denorm_mode_16_64 3
		.amdhsa_dx10_clamp 1
		.amdhsa_ieee_mode 1
		.amdhsa_fp16_overflow 0
		.amdhsa_workgroup_processor_mode 1
		.amdhsa_memory_ordered 1
		.amdhsa_forward_progress 0
		.amdhsa_shared_vgpr_count 0
		.amdhsa_exception_fp_ieee_invalid_op 0
		.amdhsa_exception_fp_denorm_src 0
		.amdhsa_exception_fp_ieee_div_zero 0
		.amdhsa_exception_fp_ieee_overflow 0
		.amdhsa_exception_fp_ieee_underflow 0
		.amdhsa_exception_fp_ieee_inexact 0
		.amdhsa_exception_int_div_zero 0
	.end_amdhsa_kernel
	.section	.text._ZN2at6native12_GLOBAL__N_143distribution_elementwise_grid_stride_kernelIfLi4EZNS0_9templates4cuda21uniform_and_transformIffPNS_17CUDAGeneratorImplEZZZNS4_14uniform_kernelIS7_EEvRNS_18TensorIteratorBaseEddT_ENKUlvE_clEvENKUlvE0_clEvEUlfE_EEvSA_T1_T2_EUlP25hiprandStatePhilox4_32_10E0_ZNS1_27distribution_nullary_kernelIff15HIP_vector_typeIfLj4EES7_SJ_SE_EEvSA_SG_RKT3_T4_EUlifE_EEvlNS_15PhiloxCudaStateESF_SG_,"axG",@progbits,_ZN2at6native12_GLOBAL__N_143distribution_elementwise_grid_stride_kernelIfLi4EZNS0_9templates4cuda21uniform_and_transformIffPNS_17CUDAGeneratorImplEZZZNS4_14uniform_kernelIS7_EEvRNS_18TensorIteratorBaseEddT_ENKUlvE_clEvENKUlvE0_clEvEUlfE_EEvSA_T1_T2_EUlP25hiprandStatePhilox4_32_10E0_ZNS1_27distribution_nullary_kernelIff15HIP_vector_typeIfLj4EES7_SJ_SE_EEvSA_SG_RKT3_T4_EUlifE_EEvlNS_15PhiloxCudaStateESF_SG_,comdat
.Lfunc_end6:
	.size	_ZN2at6native12_GLOBAL__N_143distribution_elementwise_grid_stride_kernelIfLi4EZNS0_9templates4cuda21uniform_and_transformIffPNS_17CUDAGeneratorImplEZZZNS4_14uniform_kernelIS7_EEvRNS_18TensorIteratorBaseEddT_ENKUlvE_clEvENKUlvE0_clEvEUlfE_EEvSA_T1_T2_EUlP25hiprandStatePhilox4_32_10E0_ZNS1_27distribution_nullary_kernelIff15HIP_vector_typeIfLj4EES7_SJ_SE_EEvSA_SG_RKT3_T4_EUlifE_EEvlNS_15PhiloxCudaStateESF_SG_, .Lfunc_end6-_ZN2at6native12_GLOBAL__N_143distribution_elementwise_grid_stride_kernelIfLi4EZNS0_9templates4cuda21uniform_and_transformIffPNS_17CUDAGeneratorImplEZZZNS4_14uniform_kernelIS7_EEvRNS_18TensorIteratorBaseEddT_ENKUlvE_clEvENKUlvE0_clEvEUlfE_EEvSA_T1_T2_EUlP25hiprandStatePhilox4_32_10E0_ZNS1_27distribution_nullary_kernelIff15HIP_vector_typeIfLj4EES7_SJ_SE_EEvSA_SG_RKT3_T4_EUlifE_EEvlNS_15PhiloxCudaStateESF_SG_
                                        ; -- End function
	.section	.AMDGPU.csdata,"",@progbits
; Kernel info:
; codeLenInByte = 2964
; NumSgprs: 25
; NumVgprs: 44
; ScratchSize: 0
; MemoryBound: 0
; FloatMode: 240
; IeeeMode: 1
; LDSByteSize: 0 bytes/workgroup (compile time only)
; SGPRBlocks: 3
; VGPRBlocks: 5
; NumSGPRsForWavesPerEU: 25
; NumVGPRsForWavesPerEU: 44
; Occupancy: 16
; WaveLimiterHint : 0
; COMPUTE_PGM_RSRC2:SCRATCH_EN: 0
; COMPUTE_PGM_RSRC2:USER_SGPR: 15
; COMPUTE_PGM_RSRC2:TRAP_HANDLER: 0
; COMPUTE_PGM_RSRC2:TGID_X_EN: 1
; COMPUTE_PGM_RSRC2:TGID_Y_EN: 0
; COMPUTE_PGM_RSRC2:TGID_Z_EN: 0
; COMPUTE_PGM_RSRC2:TIDIG_COMP_CNT: 0
	.section	.text._ZN2at6native12_GLOBAL__N_143distribution_elementwise_grid_stride_kernelIfLi4EZNS0_9templates4cuda21uniform_and_transformIffPNS_17CUDAGeneratorImplEZZZNS4_14uniform_kernelIS7_EEvRNS_18TensorIteratorBaseEddT_ENKUlvE_clEvENKUlvE0_clEvEUlfE_EEvSA_T1_T2_EUlP25hiprandStatePhilox4_32_10E0_ZNS1_27distribution_nullary_kernelIff15HIP_vector_typeIfLj4EES7_SJ_SE_EEvSA_SG_RKT3_T4_EUlifE0_EEvlNS_15PhiloxCudaStateESF_SG_,"axG",@progbits,_ZN2at6native12_GLOBAL__N_143distribution_elementwise_grid_stride_kernelIfLi4EZNS0_9templates4cuda21uniform_and_transformIffPNS_17CUDAGeneratorImplEZZZNS4_14uniform_kernelIS7_EEvRNS_18TensorIteratorBaseEddT_ENKUlvE_clEvENKUlvE0_clEvEUlfE_EEvSA_T1_T2_EUlP25hiprandStatePhilox4_32_10E0_ZNS1_27distribution_nullary_kernelIff15HIP_vector_typeIfLj4EES7_SJ_SE_EEvSA_SG_RKT3_T4_EUlifE0_EEvlNS_15PhiloxCudaStateESF_SG_,comdat
	.globl	_ZN2at6native12_GLOBAL__N_143distribution_elementwise_grid_stride_kernelIfLi4EZNS0_9templates4cuda21uniform_and_transformIffPNS_17CUDAGeneratorImplEZZZNS4_14uniform_kernelIS7_EEvRNS_18TensorIteratorBaseEddT_ENKUlvE_clEvENKUlvE0_clEvEUlfE_EEvSA_T1_T2_EUlP25hiprandStatePhilox4_32_10E0_ZNS1_27distribution_nullary_kernelIff15HIP_vector_typeIfLj4EES7_SJ_SE_EEvSA_SG_RKT3_T4_EUlifE0_EEvlNS_15PhiloxCudaStateESF_SG_ ; -- Begin function _ZN2at6native12_GLOBAL__N_143distribution_elementwise_grid_stride_kernelIfLi4EZNS0_9templates4cuda21uniform_and_transformIffPNS_17CUDAGeneratorImplEZZZNS4_14uniform_kernelIS7_EEvRNS_18TensorIteratorBaseEddT_ENKUlvE_clEvENKUlvE0_clEvEUlfE_EEvSA_T1_T2_EUlP25hiprandStatePhilox4_32_10E0_ZNS1_27distribution_nullary_kernelIff15HIP_vector_typeIfLj4EES7_SJ_SE_EEvSA_SG_RKT3_T4_EUlifE0_EEvlNS_15PhiloxCudaStateESF_SG_
	.p2align	8
	.type	_ZN2at6native12_GLOBAL__N_143distribution_elementwise_grid_stride_kernelIfLi4EZNS0_9templates4cuda21uniform_and_transformIffPNS_17CUDAGeneratorImplEZZZNS4_14uniform_kernelIS7_EEvRNS_18TensorIteratorBaseEddT_ENKUlvE_clEvENKUlvE0_clEvEUlfE_EEvSA_T1_T2_EUlP25hiprandStatePhilox4_32_10E0_ZNS1_27distribution_nullary_kernelIff15HIP_vector_typeIfLj4EES7_SJ_SE_EEvSA_SG_RKT3_T4_EUlifE0_EEvlNS_15PhiloxCudaStateESF_SG_,@function
_ZN2at6native12_GLOBAL__N_143distribution_elementwise_grid_stride_kernelIfLi4EZNS0_9templates4cuda21uniform_and_transformIffPNS_17CUDAGeneratorImplEZZZNS4_14uniform_kernelIS7_EEvRNS_18TensorIteratorBaseEddT_ENKUlvE_clEvENKUlvE0_clEvEUlfE_EEvSA_T1_T2_EUlP25hiprandStatePhilox4_32_10E0_ZNS1_27distribution_nullary_kernelIff15HIP_vector_typeIfLj4EES7_SJ_SE_EEvSA_SG_RKT3_T4_EUlifE0_EEvlNS_15PhiloxCudaStateESF_SG_: ; @_ZN2at6native12_GLOBAL__N_143distribution_elementwise_grid_stride_kernelIfLi4EZNS0_9templates4cuda21uniform_and_transformIffPNS_17CUDAGeneratorImplEZZZNS4_14uniform_kernelIS7_EEvRNS_18TensorIteratorBaseEddT_ENKUlvE_clEvENKUlvE0_clEvEUlfE_EEvSA_T1_T2_EUlP25hiprandStatePhilox4_32_10E0_ZNS1_27distribution_nullary_kernelIff15HIP_vector_typeIfLj4EES7_SJ_SE_EEvSA_SG_RKT3_T4_EUlifE0_EEvlNS_15PhiloxCudaStateESF_SG_
; %bb.0:
	s_clause 0x2
	s_load_b64 s[4:5], s[0:1], 0x10
	s_load_b128 s[16:19], s[0:1], 0x0
	s_load_b32 s2, s[0:1], 0x20
	s_waitcnt lgkmcnt(0)
	v_dual_mov_b32 v2, s4 :: v_dual_mov_b32 v3, s5
	v_dual_mov_b32 v11, s18 :: v_dual_mov_b32 v12, s19
	s_bitcmp0_b32 s2, 0
	s_mov_b32 s2, 0
	s_cbranch_scc1 .LBB7_2
; %bb.1:
	v_dual_mov_b32 v1, s4 :: v_dual_mov_b32 v2, s5
	v_dual_mov_b32 v4, s18 :: v_dual_mov_b32 v5, s19
	s_load_b64 s[4:5], s[0:1], 0x18
	flat_load_b64 v[2:3], v[1:2]
	flat_load_b64 v[11:12], v[4:5]
	s_waitcnt vmcnt(1) lgkmcnt(0)
	v_add_co_u32 v2, vcc_lo, v2, s4
	v_add_co_ci_u32_e32 v3, vcc_lo, s5, v3, vcc_lo
.LBB7_2:
	s_clause 0x1
	s_load_b32 s3, s[0:1], 0x15c
	s_load_b32 s4, s[0:1], 0x150
	s_waitcnt lgkmcnt(0)
	s_and_b32 s5, s3, 0xffff
	s_add_u32 s6, s16, -1
	s_mul_i32 s28, s4, s5
	s_addc_u32 s3, s17, -1
	s_lshl_b32 s29, s28, 2
	s_cmp_lg_u64 s[2:3], 0
	s_cbranch_scc0 .LBB7_79
; %bb.3:
	v_cvt_f32_ubyte0_e32 v1, 0
	v_cvt_f32_u32_e32 v4, s29
	s_sub_u32 s8, 0, s29
	s_subb_u32 s9, 0, 0
	s_delay_alu instid0(VALU_DEP_1) | instskip(NEXT) | instid1(VALU_DEP_1)
	v_fmamk_f32 v1, v1, 0x4f800000, v4
	v_rcp_f32_e32 v1, v1
	s_waitcnt_depctr 0xfff
	v_mul_f32_e32 v1, 0x5f7ffffc, v1
	s_delay_alu instid0(VALU_DEP_1) | instskip(NEXT) | instid1(VALU_DEP_1)
	v_mul_f32_e32 v4, 0x2f800000, v1
	v_trunc_f32_e32 v4, v4
	s_delay_alu instid0(VALU_DEP_1) | instskip(SKIP_1) | instid1(VALU_DEP_2)
	v_fmamk_f32 v1, v4, 0xcf800000, v1
	v_cvt_u32_f32_e32 v4, v4
	v_cvt_u32_f32_e32 v1, v1
	s_delay_alu instid0(VALU_DEP_2) | instskip(NEXT) | instid1(VALU_DEP_2)
	v_readfirstlane_b32 s2, v4
	v_readfirstlane_b32 s7, v1
	s_delay_alu instid0(VALU_DEP_2) | instskip(NEXT) | instid1(VALU_DEP_1)
	s_mul_i32 s10, s8, s2
	s_mul_hi_u32 s12, s8, s7
	s_mul_i32 s11, s9, s7
	s_add_i32 s10, s12, s10
	s_mul_i32 s13, s8, s7
	s_add_i32 s10, s10, s11
	s_mul_hi_u32 s12, s7, s13
	s_mul_hi_u32 s14, s2, s13
	s_mul_i32 s11, s2, s13
	s_mul_hi_u32 s13, s7, s10
	s_mul_i32 s7, s7, s10
	s_mul_hi_u32 s18, s2, s10
	s_add_u32 s7, s12, s7
	s_addc_u32 s12, 0, s13
	s_add_u32 s7, s7, s11
	s_mul_i32 s10, s2, s10
	s_addc_u32 s7, s12, s14
	s_addc_u32 s11, s18, 0
	s_add_u32 s7, s7, s10
	s_addc_u32 s10, 0, s11
	v_add_co_u32 v1, s7, v1, s7
	s_delay_alu instid0(VALU_DEP_1) | instskip(SKIP_1) | instid1(VALU_DEP_1)
	s_cmp_lg_u32 s7, 0
	s_addc_u32 s2, s2, s10
	v_readfirstlane_b32 s7, v1
	s_mul_i32 s10, s8, s2
	s_delay_alu instid0(VALU_DEP_1)
	s_mul_hi_u32 s11, s8, s7
	s_mul_i32 s9, s9, s7
	s_add_i32 s10, s11, s10
	s_mul_i32 s8, s8, s7
	s_add_i32 s10, s10, s9
	s_mul_hi_u32 s11, s2, s8
	s_mul_i32 s12, s2, s8
	s_mul_hi_u32 s8, s7, s8
	s_mul_hi_u32 s13, s7, s10
	s_mul_i32 s7, s7, s10
	s_mul_hi_u32 s9, s2, s10
	s_add_u32 s7, s8, s7
	s_addc_u32 s8, 0, s13
	s_add_u32 s7, s7, s12
	s_mul_i32 s10, s2, s10
	s_addc_u32 s7, s8, s11
	s_addc_u32 s8, s9, 0
	s_add_u32 s7, s7, s10
	s_addc_u32 s8, 0, s8
	v_add_co_u32 v1, s7, v1, s7
	s_delay_alu instid0(VALU_DEP_1) | instskip(SKIP_2) | instid1(VALU_DEP_1)
	s_cmp_lg_u32 s7, 0
	s_addc_u32 s7, s2, s8
	s_ashr_i32 s8, s3, 31
	v_readfirstlane_b32 s10, v1
	s_add_u32 s2, s6, s8
	s_mov_b32 s9, s8
	s_addc_u32 s3, s3, s8
	s_delay_alu instid0(SALU_CYCLE_1) | instskip(NEXT) | instid1(SALU_CYCLE_1)
	s_xor_b64 s[2:3], s[2:3], s[8:9]
	s_mul_i32 s12, s2, s7
	s_mul_hi_u32 s13, s2, s10
	s_mul_hi_u32 s11, s2, s7
	;; [unrolled: 1-line block ×3, first 2 shown]
	s_mul_i32 s10, s3, s10
	s_add_u32 s12, s13, s12
	s_addc_u32 s11, 0, s11
	s_mul_hi_u32 s14, s3, s7
	s_add_u32 s10, s12, s10
	s_mul_i32 s7, s3, s7
	s_addc_u32 s10, s11, s18
	s_addc_u32 s11, s14, 0
	s_add_u32 s7, s10, s7
	s_addc_u32 s10, 0, s11
	s_mul_i32 s12, s29, s7
	s_add_u32 s11, s7, 1
	v_sub_co_u32 v1, s2, s2, s12
	s_mul_hi_u32 s12, s29, s7
	s_addc_u32 s13, s10, 0
	s_mul_i32 s14, s29, s10
	s_delay_alu instid0(VALU_DEP_1)
	v_sub_co_u32 v4, s18, v1, s29
	s_add_u32 s19, s7, 2
	s_addc_u32 s20, s10, 0
	s_add_i32 s12, s12, s14
	s_cmp_lg_u32 s2, 0
	v_readfirstlane_b32 s2, v4
	s_subb_u32 s3, s3, s12
	s_cmp_lg_u32 s18, 0
	s_subb_u32 s12, s3, 0
	s_delay_alu instid0(VALU_DEP_1) | instskip(SKIP_4) | instid1(SALU_CYCLE_1)
	s_cmp_ge_u32 s2, s29
	s_cselect_b32 s2, -1, 0
	s_cmp_eq_u32 s12, 0
	v_readfirstlane_b32 s12, v1
	s_cselect_b32 s2, s2, -1
	s_cmp_lg_u32 s2, 0
	s_cselect_b32 s2, s19, s11
	s_cselect_b32 s11, s20, s13
	s_cmp_ge_u32 s12, s29
	s_cselect_b32 s12, -1, 0
	s_cmp_eq_u32 s3, 0
	s_cselect_b32 s3, s12, -1
	s_delay_alu instid0(SALU_CYCLE_1) | instskip(SKIP_2) | instid1(SALU_CYCLE_1)
	s_cmp_lg_u32 s3, 0
	s_cselect_b32 s3, s11, s10
	s_cselect_b32 s2, s2, s7
	s_xor_b64 s[2:3], s[2:3], s[8:9]
	s_delay_alu instid0(SALU_CYCLE_1)
	s_sub_u32 s2, s2, s8
	s_subb_u32 s3, s3, s8
	s_cbranch_execnz .LBB7_5
.LBB7_4:
	v_cvt_f32_u32_e32 v1, s29
	s_sub_i32 s3, 0, s29
	s_delay_alu instid0(VALU_DEP_1) | instskip(SKIP_2) | instid1(VALU_DEP_1)
	v_rcp_iflag_f32_e32 v1, v1
	s_waitcnt_depctr 0xfff
	v_mul_f32_e32 v1, 0x4f7ffffe, v1
	v_cvt_u32_f32_e32 v1, v1
	s_delay_alu instid0(VALU_DEP_1) | instskip(NEXT) | instid1(VALU_DEP_1)
	v_readfirstlane_b32 s2, v1
	s_mul_i32 s3, s3, s2
	s_delay_alu instid0(SALU_CYCLE_1) | instskip(NEXT) | instid1(SALU_CYCLE_1)
	s_mul_hi_u32 s3, s2, s3
	s_add_i32 s2, s2, s3
	s_delay_alu instid0(SALU_CYCLE_1) | instskip(NEXT) | instid1(SALU_CYCLE_1)
	s_mul_hi_u32 s2, s6, s2
	s_mul_i32 s3, s2, s29
	s_delay_alu instid0(SALU_CYCLE_1)
	s_sub_i32 s3, s6, s3
	s_add_i32 s6, s2, 1
	s_sub_i32 s7, s3, s29
	s_cmp_ge_u32 s3, s29
	s_cselect_b32 s2, s6, s2
	s_cselect_b32 s3, s7, s3
	s_add_i32 s6, s2, 1
	s_cmp_ge_u32 s3, s29
	s_mov_b32 s3, 0
	s_cselect_b32 s2, s6, s2
.LBB7_5:
	v_mov_b32_e32 v1, 0
	s_add_u32 s2, s2, 1
	s_addc_u32 s3, s3, 0
	s_mul_hi_u32 s6, s28, s2
	s_mul_i32 s3, s28, s3
	v_mad_u64_u32 v[13:14], null, s5, s15, v[0:1]
	s_mul_hi_u32 s4, s4, s5
	s_add_i32 s3, s6, s3
	s_mul_i32 s4, s4, s2
	s_mul_i32 s2, s28, s2
	s_add_i32 s3, s3, s4
	s_mov_b32 s4, exec_lo
	s_lshl_b64 s[2:3], s[2:3], 2
	s_delay_alu instid0(SALU_CYCLE_1)
	v_cmpx_gt_i64_e64 s[2:3], v[13:14]
	s_cbranch_execz .LBB7_78
; %bb.6:
	v_alignbit_b32 v17, v3, v2, 2
	v_mad_u64_u32 v[4:5], null, 0xcd9e8d57, v13, 0
	v_lshrrev_b32_e32 v18, 2, v3
	s_waitcnt vmcnt(0)
	v_dual_mov_b32 v9, v12 :: v_dual_add_nc_u32 v26, 0x8ff34781, v11
	v_mad_u64_u32 v[0:1], null, 0xd2511f53, v17, 0
	v_add_co_u32 v20, null, 0x9e3779b9, v11
	v_xor3_b32 v3, v11, v5, v18
	s_delay_alu instid0(VALU_DEP_4) | instskip(SKIP_2) | instid1(VALU_DEP_4)
	v_add_co_u32 v19, null, 0xbb67ae85, v9
	v_add_co_u32 v21, null, 0x3c6ef372, v11
	v_xor_b32_e32 v1, v1, v12
	v_mad_u64_u32 v[5:6], null, 0xd2511f53, v3, 0
	v_add_co_u32 v22, null, 0x76cf5d0a, v9
	s_delay_alu instid0(VALU_DEP_3) | instskip(SKIP_2) | instid1(VALU_DEP_3)
	v_xor_b32_e32 v1, v1, v14
	v_add_co_u32 v23, null, 0x32370b8f, v9
	v_add_co_u32 v24, null, 0xdaa66d2b, v11
	v_mad_u64_u32 v[7:8], null, 0xcd9e8d57, v1, 0
	v_xor3_b32 v3, v19, v6, v0
	v_dual_mov_b32 v36, v13 :: v_dual_and_b32 v25, 3, v2
	v_add_co_u32 v27, null, 0x78dde6e4, v11
	s_delay_alu instid0(VALU_DEP_3) | instskip(SKIP_3) | instid1(VALU_DEP_3)
	v_mad_u64_u32 v[0:1], null, 0xcd9e8d57, v3, 0
	v_xor3_b32 v6, v20, v8, v4
	v_add_co_u32 v29, null, 0xed9eba14, v9
	v_add_co_u32 v31, null, 0xa9066899, v9
	v_mad_u64_u32 v[3:4], null, 0xd2511f53, v6, 0
	v_xor3_b32 v1, v21, v1, v7
	v_add_co_u32 v32, null, 0x1715609d, v11
	v_add_co_u32 v33, null, 0xb54cda56, v11
	;; [unrolled: 1-line block ×3, first 2 shown]
	v_xor3_b32 v8, v22, v4, v5
	v_mad_u64_u32 v[4:5], null, 0xd2511f53, v1, 0
	s_load_b256 s[4:11], s[0:1], 0x30
	v_add_co_u32 v30, null, 0x5384540f, v11
	s_delay_alu instid0(VALU_DEP_3) | instskip(SKIP_1) | instid1(VALU_DEP_4)
	v_mad_u64_u32 v[6:7], null, 0xcd9e8d57, v8, 0
	v_add_co_u32 v37, null, 0x1fd5c5a3, v9
	v_xor3_b32 v3, v23, v5, v3
	v_add_co_u32 v34, null, 0xf1bbcdc8, v11
	v_add_co_u32 v38, null, 0xdb3d7428, v9
	v_xor3_b32 v5, v24, v7, v0
	s_delay_alu instid0(VALU_DEP_4)
	v_mad_u64_u32 v[0:1], null, 0xcd9e8d57, v3, 0
	s_add_u32 s18, s0, 48
	s_clause 0x2
	s_load_b64 s[20:21], s[0:1], 0xf4
	s_load_b64 s[22:23], s[0:1], 0x138
	s_load_b128 s[12:15], s[0:1], 0x140
	v_mad_u64_u32 v[2:3], null, 0xd2511f53, v5, 0
	s_addc_u32 s19, s1, 0
	s_waitcnt lgkmcnt(0)
	s_add_i32 s24, s4, -1
	v_xor3_b32 v1, v27, v1, v6
	s_cmp_gt_u32 s24, 1
	v_mov_b32_e32 v39, v14
	s_cselect_b32 s11, -1, 0
	v_xor3_b32 v7, v29, v3, v4
	v_mad_u64_u32 v[3:4], null, 0xd2511f53, v1, 0
	s_cmp_lg_u32 s4, 0
	s_mov_b32 s30, 0
	s_delay_alu instid0(VALU_DEP_2) | instskip(SKIP_2) | instid1(VALU_DEP_2)
	v_mad_u64_u32 v[5:6], null, 0xcd9e8d57, v7, 0
	s_cselect_b32 s15, -1, 0
	s_add_u32 s0, s0, 0xf4
	v_xor3_b32 v2, v31, v4, v2
	s_addc_u32 s1, s1, 0
	s_min_u32 s25, s24, 15
	s_cmp_gt_u32 s4, 1
	s_delay_alu instid0(VALU_DEP_2) | instskip(SKIP_3) | instid1(VALU_DEP_2)
	v_xor3_b32 v4, v32, v6, v0
	v_mad_u64_u32 v[0:1], null, 0xcd9e8d57, v2, 0
	s_cselect_b32 s4, -1, 0
	s_add_i32 s25, s25, 1
	v_mad_u64_u32 v[6:7], null, 0xd2511f53, v4, 0
	s_lshl_b32 s31, s28, 1
	s_and_b32 s33, s25, 3
	s_delay_alu instid0(VALU_DEP_2) | instskip(SKIP_3) | instid1(VALU_DEP_2)
	v_xor3_b32 v4, v33, v1, v5
	s_cmp_lg_u32 s24, 2
	s_mul_i32 s36, s28, 3
	s_cselect_b32 s34, -1, 0
	v_xor3_b32 v5, v35, v7, v3
	v_mad_u64_u32 v[1:2], null, 0xd2511f53, v4, 0
	s_and_b32 s35, s25, 28
	s_cmp_lg_u32 s33, 0
	s_delay_alu instid0(VALU_DEP_2) | instskip(SKIP_1) | instid1(VALU_DEP_2)
	v_mad_u64_u32 v[3:4], null, 0xcd9e8d57, v5, 0
	s_cselect_b32 s37, -1, 0
	v_xor3_b32 v2, v37, v2, v6
	s_delay_alu instid0(VALU_DEP_2) | instskip(NEXT) | instid1(VALU_DEP_2)
	v_xor3_b32 v0, v30, v4, v0
	v_mad_u64_u32 v[4:5], null, 0xcd9e8d57, v2, 0
	s_delay_alu instid0(VALU_DEP_2) | instskip(NEXT) | instid1(VALU_DEP_2)
	v_mad_u64_u32 v[6:7], null, 0xd2511f53, v0, 0
	v_xor3_b32 v0, v34, v5, v3
	s_delay_alu instid0(VALU_DEP_2) | instskip(NEXT) | instid1(VALU_DEP_2)
	v_xor3_b32 v3, v38, v7, v1
	v_mad_u64_u32 v[7:8], null, 0xd2511f53, v0, 0
	v_add_nc_u32_e32 v28, 0x96a522ad, v12
	s_delay_alu instid0(VALU_DEP_3) | instskip(NEXT) | instid1(VALU_DEP_3)
	v_mad_u64_u32 v[1:2], null, 0xcd9e8d57, v3, 0
	v_mov_b32_e32 v3, v7
	s_delay_alu instid0(VALU_DEP_2) | instskip(NEXT) | instid1(VALU_DEP_4)
	v_xor3_b32 v0, v2, v4, v26
	v_xor3_b32 v2, v8, v6, v28
	s_branch .LBB7_9
.LBB7_7:                                ;   in Loop: Header=BB7_9 Depth=1
	v_cvt_f32_u32_e32 v0, v3
	s_delay_alu instid0(VALU_DEP_1) | instskip(NEXT) | instid1(VALU_DEP_1)
	v_fmaak_f32 v0, 0x2f800000, v0, 0x2f800000
	v_fma_f32 v0, v0, s12, s13
	s_delay_alu instid0(VALU_DEP_1)
	v_cmp_eq_f32_e32 vcc_lo, s14, v0
	v_cndmask_b32_e64 v0, v0, s13, vcc_lo
	global_store_b32 v1, v0, s[22:23]
.LBB7_8:                                ;   in Loop: Header=BB7_9 Depth=1
	s_or_b32 exec_lo, exec_lo, s38
	v_add_co_u32 v13, vcc_lo, v13, s29
	v_add_co_ci_u32_e32 v14, vcc_lo, 0, v14, vcc_lo
	v_mov_b32_e32 v7, v15
	v_dual_mov_b32 v0, v4 :: v_dual_mov_b32 v1, v5
	s_delay_alu instid0(VALU_DEP_3) | instskip(NEXT) | instid1(VALU_DEP_3)
	v_cmp_le_i64_e32 vcc_lo, s[2:3], v[13:14]
	v_dual_mov_b32 v2, v6 :: v_dual_mov_b32 v3, v7
	s_waitcnt_vscnt null, 0x0
	s_barrier
	buffer_gl0_inv
	s_or_b32 s30, vcc_lo, s30
	s_delay_alu instid0(SALU_CYCLE_1)
	s_and_not1_b32 exec_lo, exec_lo, s30
	s_cbranch_execz .LBB7_78
.LBB7_9:                                ; =>This Loop Header: Depth=1
                                        ;     Child Loop BB7_24 Depth 2
                                        ;     Child Loop BB7_29 Depth 2
	;; [unrolled: 1-line block ×8, first 2 shown]
	v_add_co_u32 v17, vcc_lo, v17, 1
	s_delay_alu instid0(VALU_DEP_1) | instskip(SKIP_2) | instid1(VALU_DEP_1)
	v_cndmask_b32_e64 v4, 0, 1, vcc_lo
	v_add_co_ci_u32_e32 v18, vcc_lo, 0, v18, vcc_lo
	s_mov_b32 s24, exec_lo
	v_cmp_eq_u32_e32 vcc_lo, 0, v18
	s_delay_alu instid0(VALU_DEP_3) | instskip(NEXT) | instid1(VALU_DEP_1)
	v_cndmask_b32_e32 v4, 0, v4, vcc_lo
	v_add_nc_u32_e32 v36, v4, v36
	s_delay_alu instid0(VALU_DEP_1) | instskip(SKIP_2) | instid1(VALU_DEP_2)
	v_cmp_eq_u32_e32 vcc_lo, 0, v36
	v_mad_u64_u32 v[6:7], null, 0xcd9e8d57, v36, 0
	v_cndmask_b32_e32 v4, 0, v4, vcc_lo
	v_xor3_b32 v9, v7, v11, v18
	s_delay_alu instid0(VALU_DEP_2) | instskip(SKIP_1) | instid1(VALU_DEP_3)
	v_add_nc_u32_e32 v39, v4, v39
	v_mad_u64_u32 v[4:5], null, 0xd2511f53, v17, 0
	v_mad_u64_u32 v[7:8], null, 0xd2511f53, v9, 0
	s_delay_alu instid0(VALU_DEP_2) | instskip(NEXT) | instid1(VALU_DEP_2)
	v_xor_b32_e32 v5, v5, v12
	v_xor3_b32 v8, v19, v8, v4
	s_delay_alu instid0(VALU_DEP_2) | instskip(NEXT) | instid1(VALU_DEP_1)
	v_xor_b32_e32 v5, v39, v5
	v_mad_u64_u32 v[9:10], null, 0xcd9e8d57, v5, 0
	s_delay_alu instid0(VALU_DEP_3) | instskip(NEXT) | instid1(VALU_DEP_2)
	v_mad_u64_u32 v[4:5], null, 0xcd9e8d57, v8, 0
	v_xor3_b32 v6, v20, v10, v6
	s_delay_alu instid0(VALU_DEP_2) | instskip(NEXT) | instid1(VALU_DEP_2)
	v_xor3_b32 v8, v21, v5, v9
	v_mad_u64_u32 v[15:16], null, 0xd2511f53, v6, 0
	s_delay_alu instid0(VALU_DEP_2) | instskip(NEXT) | instid1(VALU_DEP_2)
	v_mad_u64_u32 v[5:6], null, 0xd2511f53, v8, 0
	v_xor3_b32 v9, v22, v16, v7
	s_delay_alu instid0(VALU_DEP_2) | instskip(NEXT) | instid1(VALU_DEP_2)
	v_xor3_b32 v6, v23, v6, v15
	v_mad_u64_u32 v[7:8], null, 0xcd9e8d57, v9, 0
	s_delay_alu instid0(VALU_DEP_1) | instskip(NEXT) | instid1(VALU_DEP_3)
	v_xor3_b32 v4, v24, v8, v4
	v_mad_u64_u32 v[8:9], null, 0xcd9e8d57, v6, 0
	s_delay_alu instid0(VALU_DEP_2) | instskip(NEXT) | instid1(VALU_DEP_2)
	v_mad_u64_u32 v[15:16], null, 0xd2511f53, v4, 0
	v_xor3_b32 v6, v27, v9, v7
	s_delay_alu instid0(VALU_DEP_2) | instskip(NEXT) | instid1(VALU_DEP_2)
	v_xor3_b32 v9, v29, v16, v5
	v_mad_u64_u32 v[4:5], null, 0xd2511f53, v6, 0
	s_delay_alu instid0(VALU_DEP_2) | instskip(NEXT) | instid1(VALU_DEP_2)
	v_mad_u64_u32 v[6:7], null, 0xcd9e8d57, v9, 0
	v_xor3_b32 v5, v31, v5, v15
	s_delay_alu instid0(VALU_DEP_2) | instskip(NEXT) | instid1(VALU_DEP_2)
	;; [unrolled: 6-line block ×6, first 2 shown]
	v_xor3_b32 v4, v6, v7, v26
	v_mov_b32_e32 v6, v10
	v_cmpx_lt_i32_e32 1, v25
	s_xor_b32 s24, exec_lo, s24
	s_cbranch_execnz .LBB7_12
; %bb.10:                               ;   in Loop: Header=BB7_9 Depth=1
	s_and_not1_saveexec_b32 s24, s24
	s_cbranch_execnz .LBB7_17
.LBB7_11:                               ;   in Loop: Header=BB7_9 Depth=1
	s_or_b32 exec_lo, exec_lo, s24
	s_delay_alu instid0(SALU_CYCLE_1)
	s_mov_b32 s38, exec_lo
	v_cmpx_gt_i64_e64 s[16:17], v[13:14]
	s_cbranch_execnz .LBB7_20
	s_branch .LBB7_34
.LBB7_12:                               ;   in Loop: Header=BB7_9 Depth=1
	s_mov_b32 s25, exec_lo
	v_cmpx_lt_i32_e32 2, v25
	s_xor_b32 s25, exec_lo, s25
; %bb.13:                               ;   in Loop: Header=BB7_9 Depth=1
	v_dual_mov_b32 v7, v3 :: v_dual_mov_b32 v8, v4
	v_mov_b32_e32 v9, v5
	s_delay_alu instid0(VALU_DEP_2) | instskip(NEXT) | instid1(VALU_DEP_2)
	v_dual_mov_b32 v0, v7 :: v_dual_mov_b32 v1, v8
	v_dual_mov_b32 v2, v9 :: v_dual_mov_b32 v3, v10
; %bb.14:                               ;   in Loop: Header=BB7_9 Depth=1
	s_and_not1_saveexec_b32 s25, s25
; %bb.15:                               ;   in Loop: Header=BB7_9 Depth=1
	s_delay_alu instid0(VALU_DEP_1)
	v_dual_mov_b32 v0, v2 :: v_dual_mov_b32 v1, v3
	v_dual_mov_b32 v2, v4 :: v_dual_mov_b32 v3, v5
; %bb.16:                               ;   in Loop: Header=BB7_9 Depth=1
	s_or_b32 exec_lo, exec_lo, s25
	s_and_not1_saveexec_b32 s24, s24
	s_cbranch_execz .LBB7_11
.LBB7_17:                               ;   in Loop: Header=BB7_9 Depth=1
	s_mov_b32 s25, exec_lo
	v_cmpx_eq_u32_e32 1, v25
; %bb.18:                               ;   in Loop: Header=BB7_9 Depth=1
	v_dual_mov_b32 v0, v1 :: v_dual_mov_b32 v1, v2
	v_dual_mov_b32 v2, v3 :: v_dual_mov_b32 v3, v4
; %bb.19:                               ;   in Loop: Header=BB7_9 Depth=1
	s_or_b32 exec_lo, exec_lo, s25
	s_delay_alu instid0(SALU_CYCLE_1) | instskip(NEXT) | instid1(SALU_CYCLE_1)
	s_or_b32 exec_lo, exec_lo, s24
	s_mov_b32 s38, exec_lo
	v_cmpx_gt_i64_e64 s[16:17], v[13:14]
	s_cbranch_execz .LBB7_34
.LBB7_20:                               ;   in Loop: Header=BB7_9 Depth=1
	s_and_not1_b32 vcc_lo, exec_lo, s11
	s_cbranch_vccnz .LBB7_26
; %bb.21:                               ;   in Loop: Header=BB7_9 Depth=1
	v_mov_b32_e32 v7, 0
	s_and_not1_b32 vcc_lo, exec_lo, s15
	s_cbranch_vccnz .LBB7_30
; %bb.22:                               ;   in Loop: Header=BB7_9 Depth=1
	s_and_not1_b32 vcc_lo, exec_lo, s34
	s_mov_b32 s24, 0
	s_cbranch_vccnz .LBB7_27
; %bb.23:                               ;   in Loop: Header=BB7_9 Depth=1
	v_dual_mov_b32 v7, 0 :: v_dual_mov_b32 v8, v13
	s_mov_b32 s39, 0
	s_mov_b64 s[24:25], s[18:19]
	s_mov_b64 s[26:27], s[0:1]
.LBB7_24:                               ;   Parent Loop BB7_9 Depth=1
                                        ; =>  This Inner Loop Header: Depth=2
	s_clause 0x1
	s_load_b256 s[40:47], s[24:25], 0x4
	s_load_b128 s[48:51], s[24:25], 0x24
	s_load_b128 s[52:55], s[26:27], 0x0
	s_add_u32 s24, s24, 48
	s_addc_u32 s25, s25, 0
	s_add_i32 s39, s39, 4
	s_add_u32 s26, s26, 16
	s_addc_u32 s27, s27, 0
	s_cmp_lg_u32 s35, s39
	s_waitcnt lgkmcnt(0)
	v_mul_hi_u32 v9, s41, v8
	s_delay_alu instid0(VALU_DEP_1) | instskip(NEXT) | instid1(VALU_DEP_1)
	v_add_nc_u32_e32 v9, v8, v9
	v_lshrrev_b32_e32 v9, s42, v9
	s_delay_alu instid0(VALU_DEP_1) | instskip(SKIP_1) | instid1(VALU_DEP_2)
	v_mul_hi_u32 v10, s44, v9
	v_mul_lo_u32 v41, v9, s40
	v_add_nc_u32_e32 v10, v9, v10
	s_delay_alu instid0(VALU_DEP_2) | instskip(NEXT) | instid1(VALU_DEP_2)
	v_sub_nc_u32_e32 v41, v8, v41
	v_lshrrev_b32_e32 v10, s45, v10
	s_delay_alu instid0(VALU_DEP_2) | instskip(NEXT) | instid1(VALU_DEP_2)
	v_mul_lo_u32 v41, v41, s52
	v_mul_hi_u32 v16, s47, v10
	v_mul_lo_u32 v42, v10, s43
	s_delay_alu instid0(VALU_DEP_2) | instskip(NEXT) | instid1(VALU_DEP_2)
	v_add_nc_u32_e32 v16, v10, v16
	v_sub_nc_u32_e32 v9, v9, v42
	s_delay_alu instid0(VALU_DEP_2) | instskip(NEXT) | instid1(VALU_DEP_2)
	v_lshrrev_b32_e32 v16, s48, v16
	v_mul_lo_u32 v9, v9, s53
	s_delay_alu instid0(VALU_DEP_2) | instskip(NEXT) | instid1(VALU_DEP_2)
	v_mul_hi_u32 v40, s50, v16
	v_add3_u32 v7, v41, v7, v9
	s_delay_alu instid0(VALU_DEP_2) | instskip(NEXT) | instid1(VALU_DEP_1)
	v_add_nc_u32_e32 v40, v16, v40
	v_lshrrev_b32_e32 v8, s51, v40
	v_mul_lo_u32 v40, v16, s46
	s_delay_alu instid0(VALU_DEP_2) | instskip(NEXT) | instid1(VALU_DEP_2)
	v_mul_lo_u32 v43, v8, s49
	v_sub_nc_u32_e32 v10, v10, v40
	s_delay_alu instid0(VALU_DEP_2) | instskip(NEXT) | instid1(VALU_DEP_2)
	v_sub_nc_u32_e32 v16, v16, v43
	v_mul_lo_u32 v10, v10, s54
	s_delay_alu instid0(VALU_DEP_2) | instskip(NEXT) | instid1(VALU_DEP_1)
	v_mul_lo_u32 v16, v16, s55
	v_add3_u32 v7, v10, v7, v16
	s_cbranch_scc1 .LBB7_24
; %bb.25:                               ;   in Loop: Header=BB7_9 Depth=1
	s_mov_b32 s24, s35
	s_and_not1_b32 vcc_lo, exec_lo, s37
	s_cbranch_vccz .LBB7_28
	s_branch .LBB7_30
.LBB7_26:                               ;   in Loop: Header=BB7_9 Depth=1
                                        ; implicit-def: $vgpr7
	s_branch .LBB7_31
.LBB7_27:                               ;   in Loop: Header=BB7_9 Depth=1
	v_mov_b32_e32 v8, v13
	s_and_not1_b32 vcc_lo, exec_lo, s37
	s_cbranch_vccnz .LBB7_30
.LBB7_28:                               ;   in Loop: Header=BB7_9 Depth=1
	s_lshl_b32 s25, s24, 2
	s_mul_i32 s26, s24, 12
	s_add_u32 s24, s0, s25
	s_addc_u32 s25, s1, 0
	s_add_u32 s26, s18, s26
	s_addc_u32 s27, s19, 0
	s_mov_b32 s39, s33
	.p2align	6
.LBB7_29:                               ;   Parent Loop BB7_9 Depth=1
                                        ; =>  This Inner Loop Header: Depth=2
	s_clause 0x1
	s_load_b64 s[40:41], s[26:27], 0x4
	s_load_b32 s42, s[26:27], 0xc
	s_add_u32 s26, s26, 12
	s_addc_u32 s27, s27, 0
	s_waitcnt lgkmcnt(0)
	v_mul_hi_u32 v9, s41, v8
	s_load_b32 s41, s[24:25], 0x0
	s_add_u32 s24, s24, 4
	s_addc_u32 s25, s25, 0
	s_add_i32 s39, s39, -1
	s_delay_alu instid0(SALU_CYCLE_1) | instskip(NEXT) | instid1(VALU_DEP_1)
	s_cmp_lg_u32 s39, 0
	v_add_nc_u32_e32 v9, v8, v9
	s_delay_alu instid0(VALU_DEP_1) | instskip(NEXT) | instid1(VALU_DEP_1)
	v_lshrrev_b32_e32 v16, s42, v9
	v_mul_lo_u32 v9, v16, s40
	s_delay_alu instid0(VALU_DEP_1) | instskip(SKIP_1) | instid1(VALU_DEP_1)
	v_sub_nc_u32_e32 v8, v8, v9
	s_waitcnt lgkmcnt(0)
	v_mad_u64_u32 v[9:10], null, v8, s41, v[7:8]
	s_delay_alu instid0(VALU_DEP_1)
	v_dual_mov_b32 v8, v16 :: v_dual_mov_b32 v7, v9
	s_cbranch_scc1 .LBB7_29
.LBB7_30:                               ;   in Loop: Header=BB7_9 Depth=1
	s_cbranch_execnz .LBB7_33
.LBB7_31:                               ;   in Loop: Header=BB7_9 Depth=1
	v_mul_hi_u32 v7, v13, s6
	s_and_not1_b32 vcc_lo, exec_lo, s4
	s_delay_alu instid0(VALU_DEP_1) | instskip(NEXT) | instid1(VALU_DEP_1)
	v_add_nc_u32_e32 v7, v7, v13
	v_lshrrev_b32_e32 v8, s7, v7
	s_delay_alu instid0(VALU_DEP_1) | instskip(NEXT) | instid1(VALU_DEP_1)
	v_mul_lo_u32 v7, v8, s5
	v_sub_nc_u32_e32 v7, v13, v7
	s_delay_alu instid0(VALU_DEP_1)
	v_mul_lo_u32 v7, v7, s20
	s_cbranch_vccnz .LBB7_33
; %bb.32:                               ;   in Loop: Header=BB7_9 Depth=1
	v_mul_hi_u32 v9, s9, v8
	s_delay_alu instid0(VALU_DEP_1) | instskip(NEXT) | instid1(VALU_DEP_1)
	v_add_nc_u32_e32 v9, v8, v9
	v_lshrrev_b32_e32 v9, s10, v9
	s_delay_alu instid0(VALU_DEP_1) | instskip(NEXT) | instid1(VALU_DEP_1)
	v_mul_lo_u32 v9, v9, s8
	v_sub_nc_u32_e32 v10, v8, v9
	s_delay_alu instid0(VALU_DEP_1) | instskip(NEXT) | instid1(VALU_DEP_1)
	v_mad_u64_u32 v[8:9], null, v10, s21, v[7:8]
	v_mov_b32_e32 v7, v8
.LBB7_33:                               ;   in Loop: Header=BB7_9 Depth=1
	v_cvt_f32_u32_e32 v0, v0
	s_delay_alu instid0(VALU_DEP_1) | instskip(NEXT) | instid1(VALU_DEP_1)
	v_fmaak_f32 v0, 0x2f800000, v0, 0x2f800000
	v_fma_f32 v0, v0, s12, s13
	s_delay_alu instid0(VALU_DEP_1)
	v_cmp_eq_f32_e32 vcc_lo, s14, v0
	v_cndmask_b32_e64 v0, v0, s13, vcc_lo
	global_store_b32 v7, v0, s[22:23]
.LBB7_34:                               ;   in Loop: Header=BB7_9 Depth=1
	s_or_b32 exec_lo, exec_lo, s38
	v_add_co_u32 v7, vcc_lo, v13, s28
	v_add_co_ci_u32_e32 v8, vcc_lo, 0, v14, vcc_lo
	s_mov_b32 s38, exec_lo
	s_delay_alu instid0(VALU_DEP_1)
	v_cmpx_gt_i64_e64 s[16:17], v[7:8]
	s_cbranch_execz .LBB7_49
; %bb.35:                               ;   in Loop: Header=BB7_9 Depth=1
	s_and_not1_b32 vcc_lo, exec_lo, s11
	s_cbranch_vccnz .LBB7_41
; %bb.36:                               ;   in Loop: Header=BB7_9 Depth=1
	v_mov_b32_e32 v0, 0
	s_and_not1_b32 vcc_lo, exec_lo, s15
	s_cbranch_vccnz .LBB7_45
; %bb.37:                               ;   in Loop: Header=BB7_9 Depth=1
	s_and_not1_b32 vcc_lo, exec_lo, s34
	s_mov_b32 s24, 0
	s_cbranch_vccnz .LBB7_42
; %bb.38:                               ;   in Loop: Header=BB7_9 Depth=1
	v_mov_b32_e32 v0, 0
	v_mov_b32_e32 v8, v7
	s_mov_b32 s39, 0
	s_mov_b64 s[24:25], s[18:19]
	s_mov_b64 s[26:27], s[0:1]
.LBB7_39:                               ;   Parent Loop BB7_9 Depth=1
                                        ; =>  This Inner Loop Header: Depth=2
	s_clause 0x1
	s_load_b256 s[40:47], s[24:25], 0x4
	s_load_b128 s[48:51], s[24:25], 0x24
	s_load_b128 s[52:55], s[26:27], 0x0
	s_add_u32 s24, s24, 48
	s_addc_u32 s25, s25, 0
	s_add_i32 s39, s39, 4
	s_add_u32 s26, s26, 16
	s_addc_u32 s27, s27, 0
	s_cmp_eq_u32 s35, s39
	s_waitcnt lgkmcnt(0)
	v_mul_hi_u32 v9, s41, v8
	s_delay_alu instid0(VALU_DEP_1) | instskip(NEXT) | instid1(VALU_DEP_1)
	v_add_nc_u32_e32 v9, v8, v9
	v_lshrrev_b32_e32 v9, s42, v9
	s_delay_alu instid0(VALU_DEP_1) | instskip(SKIP_1) | instid1(VALU_DEP_2)
	v_mul_hi_u32 v10, s44, v9
	v_mul_lo_u32 v41, v9, s40
	v_add_nc_u32_e32 v10, v9, v10
	s_delay_alu instid0(VALU_DEP_2) | instskip(NEXT) | instid1(VALU_DEP_2)
	v_sub_nc_u32_e32 v41, v8, v41
	v_lshrrev_b32_e32 v10, s45, v10
	s_delay_alu instid0(VALU_DEP_2) | instskip(NEXT) | instid1(VALU_DEP_2)
	v_mul_lo_u32 v41, v41, s52
	v_mul_hi_u32 v16, s47, v10
	v_mul_lo_u32 v42, v10, s43
	s_delay_alu instid0(VALU_DEP_2) | instskip(NEXT) | instid1(VALU_DEP_2)
	v_add_nc_u32_e32 v16, v10, v16
	v_sub_nc_u32_e32 v9, v9, v42
	s_delay_alu instid0(VALU_DEP_2) | instskip(NEXT) | instid1(VALU_DEP_2)
	v_lshrrev_b32_e32 v16, s48, v16
	v_mul_lo_u32 v9, v9, s53
	s_delay_alu instid0(VALU_DEP_2) | instskip(NEXT) | instid1(VALU_DEP_2)
	v_mul_hi_u32 v40, s50, v16
	v_add3_u32 v0, v41, v0, v9
	s_delay_alu instid0(VALU_DEP_2) | instskip(NEXT) | instid1(VALU_DEP_1)
	v_add_nc_u32_e32 v40, v16, v40
	v_lshrrev_b32_e32 v8, s51, v40
	v_mul_lo_u32 v40, v16, s46
	s_delay_alu instid0(VALU_DEP_2) | instskip(NEXT) | instid1(VALU_DEP_2)
	v_mul_lo_u32 v43, v8, s49
	v_sub_nc_u32_e32 v10, v10, v40
	s_delay_alu instid0(VALU_DEP_2) | instskip(NEXT) | instid1(VALU_DEP_2)
	v_sub_nc_u32_e32 v16, v16, v43
	v_mul_lo_u32 v10, v10, s54
	s_delay_alu instid0(VALU_DEP_2) | instskip(NEXT) | instid1(VALU_DEP_1)
	v_mul_lo_u32 v16, v16, s55
	v_add3_u32 v0, v10, v0, v16
	s_cbranch_scc0 .LBB7_39
; %bb.40:                               ;   in Loop: Header=BB7_9 Depth=1
	s_mov_b32 s24, s35
	s_and_not1_b32 vcc_lo, exec_lo, s37
	s_cbranch_vccz .LBB7_43
	s_branch .LBB7_45
.LBB7_41:                               ;   in Loop: Header=BB7_9 Depth=1
                                        ; implicit-def: $vgpr0
	s_branch .LBB7_46
.LBB7_42:                               ;   in Loop: Header=BB7_9 Depth=1
	v_mov_b32_e32 v8, v7
	s_and_not1_b32 vcc_lo, exec_lo, s37
	s_cbranch_vccnz .LBB7_45
.LBB7_43:                               ;   in Loop: Header=BB7_9 Depth=1
	s_lshl_b32 s25, s24, 2
	s_mul_i32 s26, s24, 12
	s_add_u32 s24, s0, s25
	s_addc_u32 s25, s1, 0
	s_add_u32 s26, s18, s26
	s_addc_u32 s27, s19, 0
	s_mov_b32 s39, s33
	.p2align	6
.LBB7_44:                               ;   Parent Loop BB7_9 Depth=1
                                        ; =>  This Inner Loop Header: Depth=2
	s_clause 0x1
	s_load_b64 s[40:41], s[26:27], 0x4
	s_load_b32 s42, s[26:27], 0xc
	s_add_u32 s26, s26, 12
	s_addc_u32 s27, s27, 0
	s_waitcnt lgkmcnt(0)
	v_mul_hi_u32 v9, s41, v8
	s_load_b32 s41, s[24:25], 0x0
	s_add_u32 s24, s24, 4
	s_addc_u32 s25, s25, 0
	s_add_i32 s39, s39, -1
	s_delay_alu instid0(SALU_CYCLE_1) | instskip(NEXT) | instid1(VALU_DEP_1)
	s_cmp_lg_u32 s39, 0
	v_add_nc_u32_e32 v9, v8, v9
	s_delay_alu instid0(VALU_DEP_1) | instskip(NEXT) | instid1(VALU_DEP_1)
	v_lshrrev_b32_e32 v16, s42, v9
	v_mul_lo_u32 v9, v16, s40
	s_delay_alu instid0(VALU_DEP_1) | instskip(SKIP_1) | instid1(VALU_DEP_1)
	v_sub_nc_u32_e32 v8, v8, v9
	s_waitcnt lgkmcnt(0)
	v_mad_u64_u32 v[9:10], null, v8, s41, v[0:1]
	v_mov_b32_e32 v8, v16
	s_delay_alu instid0(VALU_DEP_2)
	v_mov_b32_e32 v0, v9
	s_cbranch_scc1 .LBB7_44
.LBB7_45:                               ;   in Loop: Header=BB7_9 Depth=1
	s_cbranch_execnz .LBB7_48
.LBB7_46:                               ;   in Loop: Header=BB7_9 Depth=1
	v_mul_hi_u32 v0, v7, s6
	s_and_not1_b32 vcc_lo, exec_lo, s4
	s_delay_alu instid0(VALU_DEP_1) | instskip(NEXT) | instid1(VALU_DEP_1)
	v_add_nc_u32_e32 v0, v0, v7
	v_lshrrev_b32_e32 v8, s7, v0
	s_delay_alu instid0(VALU_DEP_1) | instskip(NEXT) | instid1(VALU_DEP_1)
	v_mul_lo_u32 v0, v8, s5
	v_sub_nc_u32_e32 v0, v7, v0
	s_delay_alu instid0(VALU_DEP_1)
	v_mul_lo_u32 v0, v0, s20
	s_cbranch_vccnz .LBB7_48
; %bb.47:                               ;   in Loop: Header=BB7_9 Depth=1
	v_mul_hi_u32 v7, s9, v8
	s_delay_alu instid0(VALU_DEP_1) | instskip(NEXT) | instid1(VALU_DEP_1)
	v_add_nc_u32_e32 v7, v8, v7
	v_lshrrev_b32_e32 v7, s10, v7
	s_delay_alu instid0(VALU_DEP_1) | instskip(NEXT) | instid1(VALU_DEP_1)
	v_mul_lo_u32 v7, v7, s8
	v_sub_nc_u32_e32 v9, v8, v7
	s_delay_alu instid0(VALU_DEP_1) | instskip(NEXT) | instid1(VALU_DEP_1)
	v_mad_u64_u32 v[7:8], null, v9, s21, v[0:1]
	v_mov_b32_e32 v0, v7
.LBB7_48:                               ;   in Loop: Header=BB7_9 Depth=1
	v_cvt_f32_u32_e32 v1, v1
	s_delay_alu instid0(VALU_DEP_1) | instskip(NEXT) | instid1(VALU_DEP_1)
	v_fmaak_f32 v1, 0x2f800000, v1, 0x2f800000
	v_fma_f32 v1, v1, s12, s13
	s_delay_alu instid0(VALU_DEP_1)
	v_cmp_eq_f32_e32 vcc_lo, s14, v1
	v_cndmask_b32_e64 v1, v1, s13, vcc_lo
	global_store_b32 v0, v1, s[22:23]
.LBB7_49:                               ;   in Loop: Header=BB7_9 Depth=1
	s_or_b32 exec_lo, exec_lo, s38
	v_add_co_u32 v0, vcc_lo, v13, s31
	v_add_co_ci_u32_e32 v1, vcc_lo, 0, v14, vcc_lo
	s_mov_b32 s38, exec_lo
	s_delay_alu instid0(VALU_DEP_1)
	v_cmpx_gt_i64_e64 s[16:17], v[0:1]
	s_cbranch_execz .LBB7_64
; %bb.50:                               ;   in Loop: Header=BB7_9 Depth=1
	s_and_not1_b32 vcc_lo, exec_lo, s11
	s_cbranch_vccnz .LBB7_56
; %bb.51:                               ;   in Loop: Header=BB7_9 Depth=1
	v_mov_b32_e32 v1, 0
	s_and_not1_b32 vcc_lo, exec_lo, s15
	s_cbranch_vccnz .LBB7_60
; %bb.52:                               ;   in Loop: Header=BB7_9 Depth=1
	s_and_not1_b32 vcc_lo, exec_lo, s34
	s_mov_b32 s24, 0
	s_cbranch_vccnz .LBB7_57
; %bb.53:                               ;   in Loop: Header=BB7_9 Depth=1
	v_mov_b32_e32 v1, 0
	v_mov_b32_e32 v7, v0
	s_mov_b32 s39, 0
	s_mov_b64 s[24:25], s[18:19]
	s_mov_b64 s[26:27], s[0:1]
.LBB7_54:                               ;   Parent Loop BB7_9 Depth=1
                                        ; =>  This Inner Loop Header: Depth=2
	s_clause 0x1
	s_load_b256 s[40:47], s[24:25], 0x4
	s_load_b128 s[48:51], s[24:25], 0x24
	s_load_b128 s[52:55], s[26:27], 0x0
	s_add_u32 s24, s24, 48
	s_addc_u32 s25, s25, 0
	s_add_i32 s39, s39, 4
	s_add_u32 s26, s26, 16
	s_addc_u32 s27, s27, 0
	s_cmp_eq_u32 s35, s39
	s_waitcnt lgkmcnt(0)
	v_mul_hi_u32 v8, s41, v7
	s_delay_alu instid0(VALU_DEP_1) | instskip(NEXT) | instid1(VALU_DEP_1)
	v_add_nc_u32_e32 v8, v7, v8
	v_lshrrev_b32_e32 v8, s42, v8
	s_delay_alu instid0(VALU_DEP_1) | instskip(SKIP_1) | instid1(VALU_DEP_2)
	v_mul_hi_u32 v9, s44, v8
	v_mul_lo_u32 v40, v8, s40
	v_add_nc_u32_e32 v9, v8, v9
	s_delay_alu instid0(VALU_DEP_2) | instskip(NEXT) | instid1(VALU_DEP_2)
	v_sub_nc_u32_e32 v40, v7, v40
	v_lshrrev_b32_e32 v9, s45, v9
	s_delay_alu instid0(VALU_DEP_2) | instskip(NEXT) | instid1(VALU_DEP_2)
	v_mul_lo_u32 v40, v40, s52
	v_mul_hi_u32 v10, s47, v9
	v_mul_lo_u32 v41, v9, s43
	s_delay_alu instid0(VALU_DEP_2) | instskip(NEXT) | instid1(VALU_DEP_2)
	v_add_nc_u32_e32 v10, v9, v10
	v_sub_nc_u32_e32 v8, v8, v41
	s_delay_alu instid0(VALU_DEP_2) | instskip(NEXT) | instid1(VALU_DEP_2)
	v_lshrrev_b32_e32 v10, s48, v10
	v_mul_lo_u32 v8, v8, s53
	s_delay_alu instid0(VALU_DEP_2) | instskip(NEXT) | instid1(VALU_DEP_2)
	v_mul_hi_u32 v16, s50, v10
	v_add3_u32 v1, v40, v1, v8
	s_delay_alu instid0(VALU_DEP_2) | instskip(NEXT) | instid1(VALU_DEP_1)
	v_add_nc_u32_e32 v16, v10, v16
	v_lshrrev_b32_e32 v7, s51, v16
	v_mul_lo_u32 v16, v10, s46
	s_delay_alu instid0(VALU_DEP_2) | instskip(NEXT) | instid1(VALU_DEP_2)
	v_mul_lo_u32 v42, v7, s49
	v_sub_nc_u32_e32 v9, v9, v16
	s_delay_alu instid0(VALU_DEP_2) | instskip(NEXT) | instid1(VALU_DEP_2)
	v_sub_nc_u32_e32 v10, v10, v42
	v_mul_lo_u32 v9, v9, s54
	s_delay_alu instid0(VALU_DEP_2) | instskip(NEXT) | instid1(VALU_DEP_1)
	v_mul_lo_u32 v10, v10, s55
	v_add3_u32 v1, v9, v1, v10
	s_cbranch_scc0 .LBB7_54
; %bb.55:                               ;   in Loop: Header=BB7_9 Depth=1
	s_mov_b32 s24, s35
	s_and_not1_b32 vcc_lo, exec_lo, s37
	s_cbranch_vccz .LBB7_58
	s_branch .LBB7_60
.LBB7_56:                               ;   in Loop: Header=BB7_9 Depth=1
                                        ; implicit-def: $vgpr1
	s_branch .LBB7_61
.LBB7_57:                               ;   in Loop: Header=BB7_9 Depth=1
	v_mov_b32_e32 v7, v0
	s_and_not1_b32 vcc_lo, exec_lo, s37
	s_cbranch_vccnz .LBB7_60
.LBB7_58:                               ;   in Loop: Header=BB7_9 Depth=1
	s_lshl_b32 s25, s24, 2
	s_mul_i32 s26, s24, 12
	s_add_u32 s24, s0, s25
	s_addc_u32 s25, s1, 0
	s_add_u32 s26, s18, s26
	s_addc_u32 s27, s19, 0
	s_mov_b32 s39, s33
	.p2align	6
.LBB7_59:                               ;   Parent Loop BB7_9 Depth=1
                                        ; =>  This Inner Loop Header: Depth=2
	s_clause 0x1
	s_load_b64 s[40:41], s[26:27], 0x4
	s_load_b32 s42, s[26:27], 0xc
	s_add_u32 s26, s26, 12
	s_addc_u32 s27, s27, 0
	s_waitcnt lgkmcnt(0)
	v_mul_hi_u32 v8, s41, v7
	s_load_b32 s41, s[24:25], 0x0
	s_add_u32 s24, s24, 4
	s_addc_u32 s25, s25, 0
	s_add_i32 s39, s39, -1
	s_delay_alu instid0(SALU_CYCLE_1) | instskip(NEXT) | instid1(VALU_DEP_1)
	s_cmp_lg_u32 s39, 0
	v_add_nc_u32_e32 v8, v7, v8
	s_delay_alu instid0(VALU_DEP_1) | instskip(NEXT) | instid1(VALU_DEP_1)
	v_lshrrev_b32_e32 v10, s42, v8
	v_mul_lo_u32 v8, v10, s40
	s_delay_alu instid0(VALU_DEP_1) | instskip(SKIP_1) | instid1(VALU_DEP_1)
	v_sub_nc_u32_e32 v7, v7, v8
	s_waitcnt lgkmcnt(0)
	v_mad_u64_u32 v[8:9], null, v7, s41, v[1:2]
	v_mov_b32_e32 v7, v10
	s_delay_alu instid0(VALU_DEP_2)
	v_mov_b32_e32 v1, v8
	s_cbranch_scc1 .LBB7_59
.LBB7_60:                               ;   in Loop: Header=BB7_9 Depth=1
	s_cbranch_execnz .LBB7_63
.LBB7_61:                               ;   in Loop: Header=BB7_9 Depth=1
	v_mul_hi_u32 v1, v0, s6
	s_and_not1_b32 vcc_lo, exec_lo, s4
	s_delay_alu instid0(VALU_DEP_1) | instskip(NEXT) | instid1(VALU_DEP_1)
	v_add_nc_u32_e32 v1, v1, v0
	v_lshrrev_b32_e32 v7, s7, v1
	s_delay_alu instid0(VALU_DEP_1) | instskip(NEXT) | instid1(VALU_DEP_1)
	v_mul_lo_u32 v1, v7, s5
	v_sub_nc_u32_e32 v0, v0, v1
	s_delay_alu instid0(VALU_DEP_1)
	v_mul_lo_u32 v1, v0, s20
	s_cbranch_vccnz .LBB7_63
; %bb.62:                               ;   in Loop: Header=BB7_9 Depth=1
	v_mul_hi_u32 v0, s9, v7
	s_delay_alu instid0(VALU_DEP_1) | instskip(NEXT) | instid1(VALU_DEP_1)
	v_add_nc_u32_e32 v0, v7, v0
	v_lshrrev_b32_e32 v0, s10, v0
	s_delay_alu instid0(VALU_DEP_1) | instskip(NEXT) | instid1(VALU_DEP_1)
	v_mul_lo_u32 v0, v0, s8
	v_sub_nc_u32_e32 v0, v7, v0
	s_delay_alu instid0(VALU_DEP_1) | instskip(NEXT) | instid1(VALU_DEP_1)
	v_mad_u64_u32 v[7:8], null, v0, s21, v[1:2]
	v_mov_b32_e32 v1, v7
.LBB7_63:                               ;   in Loop: Header=BB7_9 Depth=1
	v_cvt_f32_u32_e32 v0, v2
	s_delay_alu instid0(VALU_DEP_1) | instskip(NEXT) | instid1(VALU_DEP_1)
	v_fmaak_f32 v0, 0x2f800000, v0, 0x2f800000
	v_fma_f32 v0, v0, s12, s13
	s_delay_alu instid0(VALU_DEP_1)
	v_cmp_eq_f32_e32 vcc_lo, s14, v0
	v_cndmask_b32_e64 v0, v0, s13, vcc_lo
	global_store_b32 v1, v0, s[22:23]
.LBB7_64:                               ;   in Loop: Header=BB7_9 Depth=1
	s_or_b32 exec_lo, exec_lo, s38
	v_add_co_u32 v0, vcc_lo, v13, s36
	v_add_co_ci_u32_e32 v1, vcc_lo, 0, v14, vcc_lo
	s_mov_b32 s38, exec_lo
	s_delay_alu instid0(VALU_DEP_1)
	v_cmpx_gt_i64_e64 s[16:17], v[0:1]
	s_cbranch_execz .LBB7_8
; %bb.65:                               ;   in Loop: Header=BB7_9 Depth=1
	s_and_not1_b32 vcc_lo, exec_lo, s11
	s_cbranch_vccnz .LBB7_71
; %bb.66:                               ;   in Loop: Header=BB7_9 Depth=1
	v_mov_b32_e32 v1, 0
	s_and_not1_b32 vcc_lo, exec_lo, s15
	s_cbranch_vccnz .LBB7_75
; %bb.67:                               ;   in Loop: Header=BB7_9 Depth=1
	s_and_not1_b32 vcc_lo, exec_lo, s34
	s_mov_b32 s24, 0
	s_cbranch_vccnz .LBB7_72
; %bb.68:                               ;   in Loop: Header=BB7_9 Depth=1
	v_dual_mov_b32 v1, 0 :: v_dual_mov_b32 v2, v0
	s_mov_b32 s39, 0
	s_mov_b64 s[24:25], s[18:19]
	s_mov_b64 s[26:27], s[0:1]
.LBB7_69:                               ;   Parent Loop BB7_9 Depth=1
                                        ; =>  This Inner Loop Header: Depth=2
	s_clause 0x1
	s_load_b256 s[40:47], s[24:25], 0x4
	s_load_b128 s[48:51], s[24:25], 0x24
	s_load_b128 s[52:55], s[26:27], 0x0
	s_add_u32 s24, s24, 48
	s_addc_u32 s25, s25, 0
	s_add_i32 s39, s39, 4
	s_add_u32 s26, s26, 16
	s_addc_u32 s27, s27, 0
	s_cmp_eq_u32 s35, s39
	s_waitcnt lgkmcnt(0)
	v_mul_hi_u32 v7, s41, v2
	s_delay_alu instid0(VALU_DEP_1) | instskip(NEXT) | instid1(VALU_DEP_1)
	v_add_nc_u32_e32 v7, v2, v7
	v_lshrrev_b32_e32 v7, s42, v7
	s_delay_alu instid0(VALU_DEP_1) | instskip(SKIP_1) | instid1(VALU_DEP_2)
	v_mul_hi_u32 v8, s44, v7
	v_mul_lo_u32 v16, v7, s40
	v_add_nc_u32_e32 v8, v7, v8
	s_delay_alu instid0(VALU_DEP_2) | instskip(NEXT) | instid1(VALU_DEP_2)
	v_sub_nc_u32_e32 v16, v2, v16
	v_lshrrev_b32_e32 v8, s45, v8
	s_delay_alu instid0(VALU_DEP_2) | instskip(NEXT) | instid1(VALU_DEP_2)
	v_mul_lo_u32 v16, v16, s52
	v_mul_hi_u32 v9, s47, v8
	v_mul_lo_u32 v40, v8, s43
	s_delay_alu instid0(VALU_DEP_2) | instskip(NEXT) | instid1(VALU_DEP_2)
	v_add_nc_u32_e32 v9, v8, v9
	v_sub_nc_u32_e32 v7, v7, v40
	s_delay_alu instid0(VALU_DEP_2) | instskip(NEXT) | instid1(VALU_DEP_2)
	v_lshrrev_b32_e32 v9, s48, v9
	v_mul_lo_u32 v7, v7, s53
	s_delay_alu instid0(VALU_DEP_2) | instskip(NEXT) | instid1(VALU_DEP_2)
	v_mul_hi_u32 v10, s50, v9
	v_add3_u32 v1, v16, v1, v7
	s_delay_alu instid0(VALU_DEP_2) | instskip(NEXT) | instid1(VALU_DEP_1)
	v_add_nc_u32_e32 v10, v9, v10
	v_lshrrev_b32_e32 v2, s51, v10
	v_mul_lo_u32 v10, v9, s46
	s_delay_alu instid0(VALU_DEP_2) | instskip(NEXT) | instid1(VALU_DEP_2)
	v_mul_lo_u32 v41, v2, s49
	v_sub_nc_u32_e32 v8, v8, v10
	s_delay_alu instid0(VALU_DEP_2) | instskip(NEXT) | instid1(VALU_DEP_2)
	v_sub_nc_u32_e32 v9, v9, v41
	v_mul_lo_u32 v8, v8, s54
	s_delay_alu instid0(VALU_DEP_2) | instskip(NEXT) | instid1(VALU_DEP_1)
	v_mul_lo_u32 v9, v9, s55
	v_add3_u32 v1, v8, v1, v9
	s_cbranch_scc0 .LBB7_69
; %bb.70:                               ;   in Loop: Header=BB7_9 Depth=1
	s_mov_b32 s24, s35
	s_and_not1_b32 vcc_lo, exec_lo, s37
	s_cbranch_vccz .LBB7_73
	s_branch .LBB7_75
.LBB7_71:                               ;   in Loop: Header=BB7_9 Depth=1
                                        ; implicit-def: $vgpr1
	s_branch .LBB7_76
.LBB7_72:                               ;   in Loop: Header=BB7_9 Depth=1
	v_mov_b32_e32 v2, v0
	s_and_not1_b32 vcc_lo, exec_lo, s37
	s_cbranch_vccnz .LBB7_75
.LBB7_73:                               ;   in Loop: Header=BB7_9 Depth=1
	s_lshl_b32 s25, s24, 2
	s_mul_i32 s26, s24, 12
	s_add_u32 s24, s0, s25
	s_addc_u32 s25, s1, 0
	s_add_u32 s26, s18, s26
	s_addc_u32 s27, s19, 0
	s_mov_b32 s39, s33
	.p2align	6
.LBB7_74:                               ;   Parent Loop BB7_9 Depth=1
                                        ; =>  This Inner Loop Header: Depth=2
	s_clause 0x1
	s_load_b64 s[40:41], s[26:27], 0x4
	s_load_b32 s42, s[26:27], 0xc
	s_add_u32 s26, s26, 12
	s_addc_u32 s27, s27, 0
	s_waitcnt lgkmcnt(0)
	v_mul_hi_u32 v7, s41, v2
	s_load_b32 s41, s[24:25], 0x0
	s_add_u32 s24, s24, 4
	s_addc_u32 s25, s25, 0
	s_add_i32 s39, s39, -1
	s_delay_alu instid0(SALU_CYCLE_1) | instskip(NEXT) | instid1(VALU_DEP_1)
	s_cmp_lg_u32 s39, 0
	v_add_nc_u32_e32 v7, v2, v7
	s_delay_alu instid0(VALU_DEP_1) | instskip(NEXT) | instid1(VALU_DEP_1)
	v_lshrrev_b32_e32 v9, s42, v7
	v_mul_lo_u32 v7, v9, s40
	s_delay_alu instid0(VALU_DEP_1) | instskip(SKIP_1) | instid1(VALU_DEP_1)
	v_sub_nc_u32_e32 v2, v2, v7
	s_waitcnt lgkmcnt(0)
	v_mad_u64_u32 v[7:8], null, v2, s41, v[1:2]
	s_delay_alu instid0(VALU_DEP_1)
	v_dual_mov_b32 v2, v9 :: v_dual_mov_b32 v1, v7
	s_cbranch_scc1 .LBB7_74
.LBB7_75:                               ;   in Loop: Header=BB7_9 Depth=1
	s_cbranch_execnz .LBB7_7
.LBB7_76:                               ;   in Loop: Header=BB7_9 Depth=1
	v_mul_hi_u32 v1, v0, s6
	s_and_not1_b32 vcc_lo, exec_lo, s4
	s_delay_alu instid0(VALU_DEP_1) | instskip(NEXT) | instid1(VALU_DEP_1)
	v_add_nc_u32_e32 v1, v1, v0
	v_lshrrev_b32_e32 v2, s7, v1
	s_delay_alu instid0(VALU_DEP_1) | instskip(NEXT) | instid1(VALU_DEP_1)
	v_mul_lo_u32 v1, v2, s5
	v_sub_nc_u32_e32 v0, v0, v1
	s_delay_alu instid0(VALU_DEP_1)
	v_mul_lo_u32 v1, v0, s20
	s_cbranch_vccnz .LBB7_7
; %bb.77:                               ;   in Loop: Header=BB7_9 Depth=1
	v_mul_hi_u32 v0, s9, v2
	s_delay_alu instid0(VALU_DEP_1) | instskip(NEXT) | instid1(VALU_DEP_1)
	v_add_nc_u32_e32 v0, v2, v0
	v_lshrrev_b32_e32 v0, s10, v0
	s_delay_alu instid0(VALU_DEP_1) | instskip(NEXT) | instid1(VALU_DEP_1)
	v_mul_lo_u32 v0, v0, s8
	v_sub_nc_u32_e32 v0, v2, v0
	s_delay_alu instid0(VALU_DEP_1) | instskip(NEXT) | instid1(VALU_DEP_1)
	v_mad_u64_u32 v[7:8], null, v0, s21, v[1:2]
	v_mov_b32_e32 v1, v7
	s_branch .LBB7_7
.LBB7_78:
	s_endpgm
.LBB7_79:
                                        ; implicit-def: $sgpr2_sgpr3
	s_branch .LBB7_4
	.section	.rodata,"a",@progbits
	.p2align	6, 0x0
	.amdhsa_kernel _ZN2at6native12_GLOBAL__N_143distribution_elementwise_grid_stride_kernelIfLi4EZNS0_9templates4cuda21uniform_and_transformIffPNS_17CUDAGeneratorImplEZZZNS4_14uniform_kernelIS7_EEvRNS_18TensorIteratorBaseEddT_ENKUlvE_clEvENKUlvE0_clEvEUlfE_EEvSA_T1_T2_EUlP25hiprandStatePhilox4_32_10E0_ZNS1_27distribution_nullary_kernelIff15HIP_vector_typeIfLj4EES7_SJ_SE_EEvSA_SG_RKT3_T4_EUlifE0_EEvlNS_15PhiloxCudaStateESF_SG_
		.amdhsa_group_segment_fixed_size 0
		.amdhsa_private_segment_fixed_size 0
		.amdhsa_kernarg_size 592
		.amdhsa_user_sgpr_count 15
		.amdhsa_user_sgpr_dispatch_ptr 0
		.amdhsa_user_sgpr_queue_ptr 0
		.amdhsa_user_sgpr_kernarg_segment_ptr 1
		.amdhsa_user_sgpr_dispatch_id 0
		.amdhsa_user_sgpr_private_segment_size 0
		.amdhsa_wavefront_size32 1
		.amdhsa_uses_dynamic_stack 0
		.amdhsa_enable_private_segment 0
		.amdhsa_system_sgpr_workgroup_id_x 1
		.amdhsa_system_sgpr_workgroup_id_y 0
		.amdhsa_system_sgpr_workgroup_id_z 0
		.amdhsa_system_sgpr_workgroup_info 0
		.amdhsa_system_vgpr_workitem_id 0
		.amdhsa_next_free_vgpr 44
		.amdhsa_next_free_sgpr 56
		.amdhsa_reserve_vcc 1
		.amdhsa_float_round_mode_32 0
		.amdhsa_float_round_mode_16_64 0
		.amdhsa_float_denorm_mode_32 3
		.amdhsa_float_denorm_mode_16_64 3
		.amdhsa_dx10_clamp 1
		.amdhsa_ieee_mode 1
		.amdhsa_fp16_overflow 0
		.amdhsa_workgroup_processor_mode 1
		.amdhsa_memory_ordered 1
		.amdhsa_forward_progress 0
		.amdhsa_shared_vgpr_count 0
		.amdhsa_exception_fp_ieee_invalid_op 0
		.amdhsa_exception_fp_denorm_src 0
		.amdhsa_exception_fp_ieee_div_zero 0
		.amdhsa_exception_fp_ieee_overflow 0
		.amdhsa_exception_fp_ieee_underflow 0
		.amdhsa_exception_fp_ieee_inexact 0
		.amdhsa_exception_int_div_zero 0
	.end_amdhsa_kernel
	.section	.text._ZN2at6native12_GLOBAL__N_143distribution_elementwise_grid_stride_kernelIfLi4EZNS0_9templates4cuda21uniform_and_transformIffPNS_17CUDAGeneratorImplEZZZNS4_14uniform_kernelIS7_EEvRNS_18TensorIteratorBaseEddT_ENKUlvE_clEvENKUlvE0_clEvEUlfE_EEvSA_T1_T2_EUlP25hiprandStatePhilox4_32_10E0_ZNS1_27distribution_nullary_kernelIff15HIP_vector_typeIfLj4EES7_SJ_SE_EEvSA_SG_RKT3_T4_EUlifE0_EEvlNS_15PhiloxCudaStateESF_SG_,"axG",@progbits,_ZN2at6native12_GLOBAL__N_143distribution_elementwise_grid_stride_kernelIfLi4EZNS0_9templates4cuda21uniform_and_transformIffPNS_17CUDAGeneratorImplEZZZNS4_14uniform_kernelIS7_EEvRNS_18TensorIteratorBaseEddT_ENKUlvE_clEvENKUlvE0_clEvEUlfE_EEvSA_T1_T2_EUlP25hiprandStatePhilox4_32_10E0_ZNS1_27distribution_nullary_kernelIff15HIP_vector_typeIfLj4EES7_SJ_SE_EEvSA_SG_RKT3_T4_EUlifE0_EEvlNS_15PhiloxCudaStateESF_SG_,comdat
.Lfunc_end7:
	.size	_ZN2at6native12_GLOBAL__N_143distribution_elementwise_grid_stride_kernelIfLi4EZNS0_9templates4cuda21uniform_and_transformIffPNS_17CUDAGeneratorImplEZZZNS4_14uniform_kernelIS7_EEvRNS_18TensorIteratorBaseEddT_ENKUlvE_clEvENKUlvE0_clEvEUlfE_EEvSA_T1_T2_EUlP25hiprandStatePhilox4_32_10E0_ZNS1_27distribution_nullary_kernelIff15HIP_vector_typeIfLj4EES7_SJ_SE_EEvSA_SG_RKT3_T4_EUlifE0_EEvlNS_15PhiloxCudaStateESF_SG_, .Lfunc_end7-_ZN2at6native12_GLOBAL__N_143distribution_elementwise_grid_stride_kernelIfLi4EZNS0_9templates4cuda21uniform_and_transformIffPNS_17CUDAGeneratorImplEZZZNS4_14uniform_kernelIS7_EEvRNS_18TensorIteratorBaseEddT_ENKUlvE_clEvENKUlvE0_clEvEUlfE_EEvSA_T1_T2_EUlP25hiprandStatePhilox4_32_10E0_ZNS1_27distribution_nullary_kernelIff15HIP_vector_typeIfLj4EES7_SJ_SE_EEvSA_SG_RKT3_T4_EUlifE0_EEvlNS_15PhiloxCudaStateESF_SG_
                                        ; -- End function
	.section	.AMDGPU.csdata,"",@progbits
; Kernel info:
; codeLenInByte = 5300
; NumSgprs: 58
; NumVgprs: 44
; ScratchSize: 0
; MemoryBound: 0
; FloatMode: 240
; IeeeMode: 1
; LDSByteSize: 0 bytes/workgroup (compile time only)
; SGPRBlocks: 7
; VGPRBlocks: 5
; NumSGPRsForWavesPerEU: 58
; NumVGPRsForWavesPerEU: 44
; Occupancy: 16
; WaveLimiterHint : 1
; COMPUTE_PGM_RSRC2:SCRATCH_EN: 0
; COMPUTE_PGM_RSRC2:USER_SGPR: 15
; COMPUTE_PGM_RSRC2:TRAP_HANDLER: 0
; COMPUTE_PGM_RSRC2:TGID_X_EN: 1
; COMPUTE_PGM_RSRC2:TGID_Y_EN: 0
; COMPUTE_PGM_RSRC2:TGID_Z_EN: 0
; COMPUTE_PGM_RSRC2:TIDIG_COMP_CNT: 0
	.section	.text._ZN2at6native12_GLOBAL__N_143distribution_elementwise_grid_stride_kernelIfLi4EZNS0_9templates4cuda21uniform_and_transformIN3c104HalfEfPNS_17CUDAGeneratorImplEZZZNS4_14uniform_kernelIS9_EEvRNS_18TensorIteratorBaseEddT_ENKUlvE_clEvENKUlvE1_clEvEUlfE_EEvSC_T1_T2_EUlP25hiprandStatePhilox4_32_10E_ZNS1_27distribution_nullary_kernelIS7_f15HIP_vector_typeIdLj2EES9_SL_SG_EEvSC_SI_RKT3_T4_EUlifE_EEvlNS_15PhiloxCudaStateESH_SI_,"axG",@progbits,_ZN2at6native12_GLOBAL__N_143distribution_elementwise_grid_stride_kernelIfLi4EZNS0_9templates4cuda21uniform_and_transformIN3c104HalfEfPNS_17CUDAGeneratorImplEZZZNS4_14uniform_kernelIS9_EEvRNS_18TensorIteratorBaseEddT_ENKUlvE_clEvENKUlvE1_clEvEUlfE_EEvSC_T1_T2_EUlP25hiprandStatePhilox4_32_10E_ZNS1_27distribution_nullary_kernelIS7_f15HIP_vector_typeIdLj2EES9_SL_SG_EEvSC_SI_RKT3_T4_EUlifE_EEvlNS_15PhiloxCudaStateESH_SI_,comdat
	.globl	_ZN2at6native12_GLOBAL__N_143distribution_elementwise_grid_stride_kernelIfLi4EZNS0_9templates4cuda21uniform_and_transformIN3c104HalfEfPNS_17CUDAGeneratorImplEZZZNS4_14uniform_kernelIS9_EEvRNS_18TensorIteratorBaseEddT_ENKUlvE_clEvENKUlvE1_clEvEUlfE_EEvSC_T1_T2_EUlP25hiprandStatePhilox4_32_10E_ZNS1_27distribution_nullary_kernelIS7_f15HIP_vector_typeIdLj2EES9_SL_SG_EEvSC_SI_RKT3_T4_EUlifE_EEvlNS_15PhiloxCudaStateESH_SI_ ; -- Begin function _ZN2at6native12_GLOBAL__N_143distribution_elementwise_grid_stride_kernelIfLi4EZNS0_9templates4cuda21uniform_and_transformIN3c104HalfEfPNS_17CUDAGeneratorImplEZZZNS4_14uniform_kernelIS9_EEvRNS_18TensorIteratorBaseEddT_ENKUlvE_clEvENKUlvE1_clEvEUlfE_EEvSC_T1_T2_EUlP25hiprandStatePhilox4_32_10E_ZNS1_27distribution_nullary_kernelIS7_f15HIP_vector_typeIdLj2EES9_SL_SG_EEvSC_SI_RKT3_T4_EUlifE_EEvlNS_15PhiloxCudaStateESH_SI_
	.p2align	8
	.type	_ZN2at6native12_GLOBAL__N_143distribution_elementwise_grid_stride_kernelIfLi4EZNS0_9templates4cuda21uniform_and_transformIN3c104HalfEfPNS_17CUDAGeneratorImplEZZZNS4_14uniform_kernelIS9_EEvRNS_18TensorIteratorBaseEddT_ENKUlvE_clEvENKUlvE1_clEvEUlfE_EEvSC_T1_T2_EUlP25hiprandStatePhilox4_32_10E_ZNS1_27distribution_nullary_kernelIS7_f15HIP_vector_typeIdLj2EES9_SL_SG_EEvSC_SI_RKT3_T4_EUlifE_EEvlNS_15PhiloxCudaStateESH_SI_,@function
_ZN2at6native12_GLOBAL__N_143distribution_elementwise_grid_stride_kernelIfLi4EZNS0_9templates4cuda21uniform_and_transformIN3c104HalfEfPNS_17CUDAGeneratorImplEZZZNS4_14uniform_kernelIS9_EEvRNS_18TensorIteratorBaseEddT_ENKUlvE_clEvENKUlvE1_clEvEUlfE_EEvSC_T1_T2_EUlP25hiprandStatePhilox4_32_10E_ZNS1_27distribution_nullary_kernelIS7_f15HIP_vector_typeIdLj2EES9_SL_SG_EEvSC_SI_RKT3_T4_EUlifE_EEvlNS_15PhiloxCudaStateESH_SI_: ; @_ZN2at6native12_GLOBAL__N_143distribution_elementwise_grid_stride_kernelIfLi4EZNS0_9templates4cuda21uniform_and_transformIN3c104HalfEfPNS_17CUDAGeneratorImplEZZZNS4_14uniform_kernelIS9_EEvRNS_18TensorIteratorBaseEddT_ENKUlvE_clEvENKUlvE1_clEvEUlfE_EEvSC_T1_T2_EUlP25hiprandStatePhilox4_32_10E_ZNS1_27distribution_nullary_kernelIS7_f15HIP_vector_typeIdLj2EES9_SL_SG_EEvSC_SI_RKT3_T4_EUlifE_EEvlNS_15PhiloxCudaStateESH_SI_
; %bb.0:
	s_clause 0x2
	s_load_b64 s[8:9], s[0:1], 0x10
	s_load_b128 s[4:7], s[0:1], 0x0
	s_load_b32 s2, s[0:1], 0x20
	s_waitcnt lgkmcnt(0)
	v_dual_mov_b32 v2, s8 :: v_dual_mov_b32 v3, s9
	v_dual_mov_b32 v12, s7 :: v_dual_mov_b32 v11, s6
	s_bitcmp0_b32 s2, 0
	s_mov_b32 s2, 0
	s_cbranch_scc1 .LBB8_2
; %bb.1:
	v_dual_mov_b32 v1, s8 :: v_dual_mov_b32 v2, s9
	v_dual_mov_b32 v4, s6 :: v_dual_mov_b32 v5, s7
	s_load_b64 s[6:7], s[0:1], 0x18
	flat_load_b64 v[2:3], v[1:2]
	flat_load_b64 v[11:12], v[4:5]
	s_waitcnt vmcnt(1) lgkmcnt(0)
	v_add_co_u32 v2, vcc_lo, v2, s6
	v_add_co_ci_u32_e32 v3, vcc_lo, s7, v3, vcc_lo
.LBB8_2:
	s_clause 0x1
	s_load_b32 s3, s[0:1], 0x54
	s_load_b32 s13, s[0:1], 0x48
	s_waitcnt lgkmcnt(0)
	s_and_b32 s12, s3, 0xffff
	s_add_u32 s8, s4, -1
	s_mul_i32 s6, s13, s12
	s_addc_u32 s3, s5, -1
	s_lshl_b32 s7, s6, 2
	s_cmp_lg_u64 s[2:3], 0
	s_cbranch_scc0 .LBB8_23
; %bb.3:
	v_cvt_f32_ubyte0_e32 v1, 0
	v_cvt_f32_u32_e32 v4, s7
	s_sub_u32 s10, 0, s7
	s_subb_u32 s11, 0, 0
	s_delay_alu instid0(VALU_DEP_1) | instskip(NEXT) | instid1(VALU_DEP_1)
	v_fmamk_f32 v1, v1, 0x4f800000, v4
	v_rcp_f32_e32 v1, v1
	s_waitcnt_depctr 0xfff
	v_mul_f32_e32 v1, 0x5f7ffffc, v1
	s_delay_alu instid0(VALU_DEP_1) | instskip(NEXT) | instid1(VALU_DEP_1)
	v_mul_f32_e32 v4, 0x2f800000, v1
	v_trunc_f32_e32 v4, v4
	s_delay_alu instid0(VALU_DEP_1) | instskip(SKIP_1) | instid1(VALU_DEP_2)
	v_fmamk_f32 v1, v4, 0xcf800000, v1
	v_cvt_u32_f32_e32 v4, v4
	v_cvt_u32_f32_e32 v1, v1
	s_delay_alu instid0(VALU_DEP_2) | instskip(NEXT) | instid1(VALU_DEP_2)
	v_readfirstlane_b32 s2, v4
	v_readfirstlane_b32 s9, v1
	s_delay_alu instid0(VALU_DEP_2) | instskip(NEXT) | instid1(VALU_DEP_1)
	s_mul_i32 s14, s10, s2
	s_mul_hi_u32 s17, s10, s9
	s_mul_i32 s16, s11, s9
	s_add_i32 s14, s17, s14
	s_mul_i32 s18, s10, s9
	s_add_i32 s14, s14, s16
	s_mul_hi_u32 s17, s9, s18
	s_mul_hi_u32 s19, s2, s18
	s_mul_i32 s16, s2, s18
	s_mul_hi_u32 s18, s9, s14
	s_mul_i32 s9, s9, s14
	s_mul_hi_u32 s20, s2, s14
	s_add_u32 s9, s17, s9
	s_addc_u32 s17, 0, s18
	s_add_u32 s9, s9, s16
	s_mul_i32 s14, s2, s14
	s_addc_u32 s9, s17, s19
	s_addc_u32 s16, s20, 0
	s_add_u32 s9, s9, s14
	s_addc_u32 s14, 0, s16
	v_add_co_u32 v1, s9, v1, s9
	s_delay_alu instid0(VALU_DEP_1) | instskip(SKIP_1) | instid1(VALU_DEP_1)
	s_cmp_lg_u32 s9, 0
	s_addc_u32 s2, s2, s14
	v_readfirstlane_b32 s9, v1
	s_mul_i32 s14, s10, s2
	s_delay_alu instid0(VALU_DEP_1)
	s_mul_hi_u32 s16, s10, s9
	s_mul_i32 s11, s11, s9
	s_add_i32 s14, s16, s14
	s_mul_i32 s10, s10, s9
	s_add_i32 s14, s14, s11
	s_mul_hi_u32 s16, s2, s10
	s_mul_i32 s17, s2, s10
	s_mul_hi_u32 s10, s9, s10
	s_mul_hi_u32 s18, s9, s14
	s_mul_i32 s9, s9, s14
	s_mul_hi_u32 s11, s2, s14
	s_add_u32 s9, s10, s9
	s_addc_u32 s10, 0, s18
	s_add_u32 s9, s9, s17
	s_mul_i32 s14, s2, s14
	s_addc_u32 s9, s10, s16
	s_addc_u32 s10, s11, 0
	s_add_u32 s9, s9, s14
	s_addc_u32 s10, 0, s10
	v_add_co_u32 v1, s9, v1, s9
	s_delay_alu instid0(VALU_DEP_1) | instskip(SKIP_2) | instid1(VALU_DEP_1)
	s_cmp_lg_u32 s9, 0
	s_addc_u32 s9, s2, s10
	s_ashr_i32 s10, s3, 31
	v_readfirstlane_b32 s14, v1
	s_add_u32 s2, s8, s10
	s_mov_b32 s11, s10
	s_addc_u32 s3, s3, s10
	s_delay_alu instid0(SALU_CYCLE_1) | instskip(NEXT) | instid1(SALU_CYCLE_1)
	s_xor_b64 s[2:3], s[2:3], s[10:11]
	s_mul_i32 s17, s2, s9
	s_mul_hi_u32 s18, s2, s14
	s_mul_hi_u32 s16, s2, s9
	;; [unrolled: 1-line block ×3, first 2 shown]
	s_mul_i32 s14, s3, s14
	s_add_u32 s17, s18, s17
	s_addc_u32 s16, 0, s16
	s_mul_hi_u32 s19, s3, s9
	s_add_u32 s14, s17, s14
	s_mul_i32 s9, s3, s9
	s_addc_u32 s14, s16, s20
	s_addc_u32 s16, s19, 0
	s_add_u32 s9, s14, s9
	s_addc_u32 s14, 0, s16
	s_mul_i32 s17, s7, s9
	s_add_u32 s16, s9, 1
	v_sub_co_u32 v1, s2, s2, s17
	s_mul_hi_u32 s17, s7, s9
	s_addc_u32 s18, s14, 0
	s_mul_i32 s19, s7, s14
	s_delay_alu instid0(VALU_DEP_1)
	v_sub_co_u32 v4, s20, v1, s7
	s_add_u32 s21, s9, 2
	s_addc_u32 s22, s14, 0
	s_add_i32 s17, s17, s19
	s_cmp_lg_u32 s2, 0
	v_readfirstlane_b32 s2, v4
	s_subb_u32 s3, s3, s17
	s_cmp_lg_u32 s20, 0
	s_subb_u32 s17, s3, 0
	s_delay_alu instid0(VALU_DEP_1) | instskip(SKIP_4) | instid1(SALU_CYCLE_1)
	s_cmp_ge_u32 s2, s7
	s_cselect_b32 s2, -1, 0
	s_cmp_eq_u32 s17, 0
	v_readfirstlane_b32 s17, v1
	s_cselect_b32 s2, s2, -1
	s_cmp_lg_u32 s2, 0
	s_cselect_b32 s2, s21, s16
	s_cselect_b32 s16, s22, s18
	s_cmp_ge_u32 s17, s7
	s_cselect_b32 s17, -1, 0
	s_cmp_eq_u32 s3, 0
	s_cselect_b32 s3, s17, -1
	s_delay_alu instid0(SALU_CYCLE_1) | instskip(SKIP_2) | instid1(SALU_CYCLE_1)
	s_cmp_lg_u32 s3, 0
	s_cselect_b32 s3, s16, s14
	s_cselect_b32 s2, s2, s9
	s_xor_b64 s[2:3], s[2:3], s[10:11]
	s_delay_alu instid0(SALU_CYCLE_1)
	s_sub_u32 s2, s2, s10
	s_subb_u32 s3, s3, s10
	s_cbranch_execnz .LBB8_5
.LBB8_4:
	v_cvt_f32_u32_e32 v1, s7
	s_sub_i32 s3, 0, s7
	s_delay_alu instid0(VALU_DEP_1) | instskip(SKIP_2) | instid1(VALU_DEP_1)
	v_rcp_iflag_f32_e32 v1, v1
	s_waitcnt_depctr 0xfff
	v_mul_f32_e32 v1, 0x4f7ffffe, v1
	v_cvt_u32_f32_e32 v1, v1
	s_delay_alu instid0(VALU_DEP_1) | instskip(NEXT) | instid1(VALU_DEP_1)
	v_readfirstlane_b32 s2, v1
	s_mul_i32 s3, s3, s2
	s_delay_alu instid0(SALU_CYCLE_1) | instskip(NEXT) | instid1(SALU_CYCLE_1)
	s_mul_hi_u32 s3, s2, s3
	s_add_i32 s2, s2, s3
	s_delay_alu instid0(SALU_CYCLE_1) | instskip(NEXT) | instid1(SALU_CYCLE_1)
	s_mul_hi_u32 s2, s8, s2
	s_mul_i32 s3, s2, s7
	s_delay_alu instid0(SALU_CYCLE_1)
	s_sub_i32 s3, s8, s3
	s_add_i32 s8, s2, 1
	s_sub_i32 s9, s3, s7
	s_cmp_ge_u32 s3, s7
	s_cselect_b32 s2, s8, s2
	s_cselect_b32 s3, s9, s3
	s_add_i32 s8, s2, 1
	s_cmp_ge_u32 s3, s7
	s_mov_b32 s3, 0
	s_cselect_b32 s2, s8, s2
.LBB8_5:
	v_mov_b32_e32 v1, 0
	s_add_u32 s2, s2, 1
	s_addc_u32 s3, s3, 0
	s_mul_hi_u32 s8, s6, s2
	s_mul_i32 s3, s6, s3
	v_mad_u64_u32 v[13:14], null, s12, s15, v[0:1]
	s_mul_hi_u32 s9, s13, s12
	s_add_i32 s3, s8, s3
	s_mul_i32 s9, s9, s2
	s_mul_i32 s2, s6, s2
	s_add_i32 s3, s3, s9
	s_mov_b32 s8, exec_lo
	s_lshl_b64 s[2:3], s[2:3], 2
	s_delay_alu instid0(SALU_CYCLE_1)
	v_cmpx_gt_i64_e64 s[2:3], v[13:14]
	s_cbranch_execz .LBB8_22
; %bb.6:
	v_alignbit_b32 v17, v3, v2, 2
	v_mad_u64_u32 v[6:7], null, 0xcd9e8d57, v13, 0
	v_lshrrev_b32_e32 v18, 2, v3
	s_waitcnt vmcnt(0)
	v_dual_mov_b32 v15, v12 :: v_dual_add_nc_u32 v34, 0x8ff34781, v11
	v_mad_u64_u32 v[4:5], null, 0xd2511f53, v17, 0
	v_add_co_u32 v20, null, 0x9e3779b9, v11
	v_xor3_b32 v3, v11, v7, v18
	s_delay_alu instid0(VALU_DEP_4) | instskip(SKIP_2) | instid1(VALU_DEP_4)
	v_add_co_u32 v19, null, 0xbb67ae85, v15
	v_add_co_u32 v21, null, 0x3c6ef372, v11
	v_xor_b32_e32 v1, v5, v12
	v_mad_u64_u32 v[7:8], null, 0xd2511f53, v3, 0
	v_add_co_u32 v22, null, 0x76cf5d0a, v15
	s_delay_alu instid0(VALU_DEP_3) | instskip(SKIP_2) | instid1(VALU_DEP_3)
	v_xor_b32_e32 v1, v1, v14
	v_add_co_u32 v23, null, 0x32370b8f, v15
	v_add_co_u32 v24, null, 0xdaa66d2b, v11
	v_mad_u64_u32 v[9:10], null, 0xcd9e8d57, v1, 0
	v_xor3_b32 v1, v19, v8, v4
	v_add_co_u32 v25, null, 0x78dde6e4, v11
	v_add_co_u32 v26, null, 0xed9eba14, v15
	s_delay_alu instid0(VALU_DEP_3) | instskip(SKIP_3) | instid1(VALU_DEP_3)
	v_mad_u64_u32 v[3:4], null, 0xcd9e8d57, v1, 0
	v_xor3_b32 v8, v20, v10, v6
	v_add_co_u32 v27, null, 0xa9066899, v15
	v_add_co_u32 v28, null, 0x1715609d, v11
	v_mad_u64_u32 v[5:6], null, 0xd2511f53, v8, 0
	v_xor3_b32 v1, v21, v4, v9
	v_add_co_u32 v29, null, 0xb54cda56, v11
	v_add_co_u32 v30, null, 0x646e171e, v15
	;; [unrolled: 1-line block ×3, first 2 shown]
	v_xor3_b32 v4, v22, v6, v7
	v_mad_u64_u32 v[6:7], null, 0xd2511f53, v1, 0
	v_add_co_u32 v32, null, 0x5384540f, v11
	s_delay_alu instid0(VALU_DEP_3) | instskip(SKIP_1) | instid1(VALU_DEP_4)
	v_mad_u64_u32 v[8:9], null, 0xcd9e8d57, v4, 0
	v_dual_mov_b32 v38, v13 :: v_dual_and_b32 v33, 3, v2
	v_xor3_b32 v1, v23, v7, v5
	s_clause 0x1
	s_load_b128 s[8:11], s[0:1], 0x30
	s_load_b32 s0, s[0:1], 0x40
	v_add_co_u32 v36, null, 0xf1bbcdc8, v11
	s_delay_alu instid0(VALU_DEP_4) | instskip(SKIP_2) | instid1(VALU_DEP_3)
	v_xor3_b32 v5, v24, v9, v3
	v_mad_u64_u32 v[3:4], null, 0xcd9e8d57, v1, 0
	v_add_co_u32 v37, null, 0xdb3d7428, v15
	v_mad_u64_u32 v[9:10], null, 0xd2511f53, v5, 0
	v_dual_mov_b32 v42, v14 :: v_dual_add_nc_u32 v35, 0x96a522ad, v12
	s_delay_alu instid0(VALU_DEP_4) | instskip(SKIP_1) | instid1(VALU_DEP_3)
	v_xor3_b32 v1, v25, v4, v8
	s_mov_b32 s1, 0
	v_xor3_b32 v8, v26, v10, v6
	s_delay_alu instid0(VALU_DEP_2) | instskip(SKIP_2) | instid1(VALU_DEP_3)
	v_mad_u64_u32 v[4:5], null, 0xd2511f53, v1, 0
	s_waitcnt lgkmcnt(0)
	v_cvt_f32_f16_e32 v39, s0
	v_mad_u64_u32 v[6:7], null, 0xcd9e8d57, v8, 0
	s_delay_alu instid0(VALU_DEP_3) | instskip(NEXT) | instid1(VALU_DEP_2)
	v_xor3_b32 v1, v27, v5, v9
	v_xor3_b32 v3, v28, v7, v3
	s_delay_alu instid0(VALU_DEP_2) | instskip(NEXT) | instid1(VALU_DEP_2)
	v_mad_u64_u32 v[7:8], null, 0xcd9e8d57, v1, 0
	v_mad_u64_u32 v[9:10], null, 0xd2511f53, v3, 0
	s_delay_alu instid0(VALU_DEP_2) | instskip(NEXT) | instid1(VALU_DEP_2)
	v_xor3_b32 v1, v29, v8, v6
	v_xor3_b32 v8, v30, v10, v4
	s_delay_alu instid0(VALU_DEP_2) | instskip(NEXT) | instid1(VALU_DEP_2)
	v_mad_u64_u32 v[3:4], null, 0xd2511f53, v1, 0
	v_mad_u64_u32 v[5:6], null, 0xcd9e8d57, v8, 0
	s_delay_alu instid0(VALU_DEP_2) | instskip(NEXT) | instid1(VALU_DEP_2)
	v_xor3_b32 v1, v31, v4, v9
	v_xor3_b32 v2, v32, v6, v7
	s_delay_alu instid0(VALU_DEP_2) | instskip(SKIP_1) | instid1(VALU_DEP_3)
	v_mad_u64_u32 v[6:7], null, 0xcd9e8d57, v1, 0
	v_mad_u64_u32 v[15:16], null, s15, s12, v[0:1]
	;; [unrolled: 1-line block ×3, first 2 shown]
	s_add_i32 s15, s15, s13
	s_mul_i32 s13, s13, s10
	s_delay_alu instid0(VALU_DEP_3) | instskip(SKIP_1) | instid1(VALU_DEP_3)
	v_xor3_b32 v1, v36, v7, v5
	s_mul_i32 s13, s13, s12
	v_mul_lo_u32 v40, s10, v15
	s_delay_alu instid0(VALU_DEP_3) | instskip(NEXT) | instid1(VALU_DEP_3)
	v_xor3_b32 v7, v37, v9, v3
	v_mad_u64_u32 v[3:4], null, s15, s12, v[0:1]
	v_mad_u64_u32 v[4:5], null, 0xd2511f53, v1, 0
	s_delay_alu instid0(VALU_DEP_3) | instskip(SKIP_2) | instid1(VALU_DEP_3)
	v_mad_u64_u32 v[1:2], null, 0xcd9e8d57, v7, 0
	s_lshl_b32 s12, s13, 2
	s_mov_b32 s13, 0
	v_mul_lo_u32 v41, s10, v3
	s_lshr_b32 s10, s0, 16
	s_delay_alu instid0(VALU_DEP_3) | instskip(NEXT) | instid1(VALU_DEP_3)
	v_mov_b32_e32 v3, v4
	v_xor3_b32 v0, v2, v6, v34
	v_xor3_b32 v2, v5, v8, v35
	s_branch .LBB8_8
.LBB8_7:                                ;   in Loop: Header=BB8_8 Depth=1
	s_or_b32 exec_lo, exec_lo, s14
	v_add_co_u32 v13, vcc_lo, v13, s7
	v_add_co_ci_u32_e32 v14, vcc_lo, 0, v14, vcc_lo
	v_mov_b32_e32 v7, v15
	v_dual_mov_b32 v0, v4 :: v_dual_mov_b32 v1, v5
	s_delay_alu instid0(VALU_DEP_3) | instskip(NEXT) | instid1(VALU_DEP_3)
	v_cmp_le_i64_e32 vcc_lo, s[2:3], v[13:14]
	v_dual_mov_b32 v2, v6 :: v_dual_mov_b32 v3, v7
	s_add_i32 s13, s13, s12
	s_waitcnt_vscnt null, 0x0
	s_barrier
	s_or_b32 s1, vcc_lo, s1
	buffer_gl0_inv
	s_and_not1_b32 exec_lo, exec_lo, s1
	s_cbranch_execz .LBB8_22
.LBB8_8:                                ; =>This Inner Loop Header: Depth=1
	v_add_co_u32 v17, vcc_lo, v17, 1
	s_delay_alu instid0(VALU_DEP_1) | instskip(SKIP_2) | instid1(VALU_DEP_1)
	v_cndmask_b32_e64 v4, 0, 1, vcc_lo
	v_add_co_ci_u32_e32 v18, vcc_lo, 0, v18, vcc_lo
	s_mov_b32 s14, exec_lo
	v_cmp_eq_u32_e32 vcc_lo, 0, v18
	s_delay_alu instid0(VALU_DEP_3) | instskip(NEXT) | instid1(VALU_DEP_1)
	v_cndmask_b32_e32 v4, 0, v4, vcc_lo
	v_add_nc_u32_e32 v38, v4, v38
	s_delay_alu instid0(VALU_DEP_1) | instskip(SKIP_2) | instid1(VALU_DEP_2)
	v_cmp_eq_u32_e32 vcc_lo, 0, v38
	v_mad_u64_u32 v[6:7], null, 0xcd9e8d57, v38, 0
	v_cndmask_b32_e32 v4, 0, v4, vcc_lo
	v_xor3_b32 v9, v7, v11, v18
	s_delay_alu instid0(VALU_DEP_2) | instskip(SKIP_1) | instid1(VALU_DEP_3)
	v_add_nc_u32_e32 v42, v4, v42
	v_mad_u64_u32 v[4:5], null, 0xd2511f53, v17, 0
	v_mad_u64_u32 v[7:8], null, 0xd2511f53, v9, 0
	s_delay_alu instid0(VALU_DEP_2) | instskip(NEXT) | instid1(VALU_DEP_2)
	v_xor_b32_e32 v5, v5, v12
	v_xor3_b32 v8, v19, v8, v4
	s_delay_alu instid0(VALU_DEP_2) | instskip(NEXT) | instid1(VALU_DEP_1)
	v_xor_b32_e32 v5, v42, v5
	v_mad_u64_u32 v[9:10], null, 0xcd9e8d57, v5, 0
	s_delay_alu instid0(VALU_DEP_3) | instskip(NEXT) | instid1(VALU_DEP_2)
	v_mad_u64_u32 v[4:5], null, 0xcd9e8d57, v8, 0
	v_xor3_b32 v6, v20, v10, v6
	s_delay_alu instid0(VALU_DEP_2) | instskip(NEXT) | instid1(VALU_DEP_2)
	v_xor3_b32 v8, v21, v5, v9
	v_mad_u64_u32 v[15:16], null, 0xd2511f53, v6, 0
	s_delay_alu instid0(VALU_DEP_2) | instskip(NEXT) | instid1(VALU_DEP_2)
	v_mad_u64_u32 v[5:6], null, 0xd2511f53, v8, 0
	v_xor3_b32 v9, v22, v16, v7
	s_delay_alu instid0(VALU_DEP_2) | instskip(NEXT) | instid1(VALU_DEP_2)
	v_xor3_b32 v6, v23, v6, v15
	v_mad_u64_u32 v[7:8], null, 0xcd9e8d57, v9, 0
	s_delay_alu instid0(VALU_DEP_1) | instskip(NEXT) | instid1(VALU_DEP_3)
	v_xor3_b32 v4, v24, v8, v4
	v_mad_u64_u32 v[8:9], null, 0xcd9e8d57, v6, 0
	s_delay_alu instid0(VALU_DEP_2) | instskip(NEXT) | instid1(VALU_DEP_2)
	v_mad_u64_u32 v[15:16], null, 0xd2511f53, v4, 0
	v_xor3_b32 v6, v25, v9, v7
	s_delay_alu instid0(VALU_DEP_2) | instskip(NEXT) | instid1(VALU_DEP_2)
	v_xor3_b32 v9, v26, v16, v5
	v_mad_u64_u32 v[4:5], null, 0xd2511f53, v6, 0
	s_delay_alu instid0(VALU_DEP_2) | instskip(NEXT) | instid1(VALU_DEP_2)
	v_mad_u64_u32 v[6:7], null, 0xcd9e8d57, v9, 0
	v_xor3_b32 v5, v27, v5, v15
	s_delay_alu instid0(VALU_DEP_2) | instskip(NEXT) | instid1(VALU_DEP_2)
	;; [unrolled: 6-line block ×6, first 2 shown]
	v_xor3_b32 v4, v6, v7, v34
	v_mov_b32_e32 v6, v10
	v_cmpx_lt_i32_e32 1, v33
	s_xor_b32 s14, exec_lo, s14
	s_cbranch_execnz .LBB8_14
; %bb.9:                                ;   in Loop: Header=BB8_8 Depth=1
	s_and_not1_saveexec_b32 s14, s14
	s_cbranch_execnz .LBB8_19
.LBB8_10:                               ;   in Loop: Header=BB8_8 Depth=1
	s_or_b32 exec_lo, exec_lo, s14
	s_delay_alu instid0(SALU_CYCLE_1)
	s_mov_b32 s14, exec_lo
	v_cmpx_gt_i64_e64 s[4:5], v[13:14]
	s_cbranch_execz .LBB8_12
.LBB8_11:                               ;   in Loop: Header=BB8_8 Depth=1
	v_lshrrev_b32_e32 v1, 11, v1
	s_delay_alu instid0(VALU_DEP_1) | instskip(SKIP_1) | instid1(VALU_DEP_2)
	v_cvt_f64_u32_e32 v[7:8], v1
	v_cvt_f64_u32_e32 v[0:1], v0
	v_ldexp_f64 v[7:8], v[7:8], 32
	s_delay_alu instid0(VALU_DEP_1) | instskip(NEXT) | instid1(VALU_DEP_1)
	v_add_f64 v[0:1], v[7:8], v[0:1]
	v_fma_f64 v[0:1], 0x3ca00000, v[0:1], 0x3ca00000
	s_delay_alu instid0(VALU_DEP_1) | instskip(SKIP_1) | instid1(VALU_DEP_1)
	v_cvt_f32_f64_e32 v0, v[0:1]
	v_add_nc_u32_e32 v1, s13, v40
	v_ashrrev_i32_e32 v7, 31, v1
	s_delay_alu instid0(VALU_DEP_3) | instskip(SKIP_1) | instid1(VALU_DEP_3)
	v_fma_mixlo_f16 v8, s11, v0, v39
	v_add_co_u32 v0, vcc_lo, s8, v1
	v_add_co_ci_u32_e32 v1, vcc_lo, s9, v7, vcc_lo
	s_delay_alu instid0(VALU_DEP_3)
	v_cmp_eq_f16_e32 vcc_lo, s10, v8
	v_cndmask_b32_e64 v7, v8, s0, vcc_lo
	global_store_b16 v[0:1], v7, off
.LBB8_12:                               ;   in Loop: Header=BB8_8 Depth=1
	s_or_b32 exec_lo, exec_lo, s14
	v_add_co_u32 v0, vcc_lo, s6, v13
	v_add_co_ci_u32_e32 v1, vcc_lo, 0, v14, vcc_lo
	s_mov_b32 s14, exec_lo
	s_delay_alu instid0(VALU_DEP_1)
	v_cmpx_gt_i64_e64 s[4:5], v[0:1]
	s_cbranch_execz .LBB8_7
; %bb.13:                               ;   in Loop: Header=BB8_8 Depth=1
	v_lshrrev_b32_e32 v0, 11, v3
	v_cvt_f64_u32_e32 v[2:3], v2
	s_delay_alu instid0(VALU_DEP_2) | instskip(NEXT) | instid1(VALU_DEP_1)
	v_cvt_f64_u32_e32 v[0:1], v0
	v_ldexp_f64 v[0:1], v[0:1], 32
	s_delay_alu instid0(VALU_DEP_1) | instskip(NEXT) | instid1(VALU_DEP_1)
	v_add_f64 v[0:1], v[0:1], v[2:3]
	v_fma_f64 v[0:1], 0x3ca00000, v[0:1], 0x3ca00000
	s_delay_alu instid0(VALU_DEP_1) | instskip(SKIP_1) | instid1(VALU_DEP_1)
	v_cvt_f32_f64_e32 v0, v[0:1]
	v_add_nc_u32_e32 v1, s13, v41
	v_ashrrev_i32_e32 v2, 31, v1
	s_delay_alu instid0(VALU_DEP_3) | instskip(SKIP_1) | instid1(VALU_DEP_3)
	v_fma_mixlo_f16 v3, s11, v0, v39
	v_add_co_u32 v0, vcc_lo, s8, v1
	v_add_co_ci_u32_e32 v1, vcc_lo, s9, v2, vcc_lo
	s_delay_alu instid0(VALU_DEP_3)
	v_cmp_eq_f16_e32 vcc_lo, s10, v3
	v_cndmask_b32_e64 v2, v3, s0, vcc_lo
	global_store_b16 v[0:1], v2, off
	s_branch .LBB8_7
.LBB8_14:                               ;   in Loop: Header=BB8_8 Depth=1
	s_mov_b32 s15, exec_lo
	v_cmpx_lt_i32_e32 2, v33
	s_xor_b32 s15, exec_lo, s15
; %bb.15:                               ;   in Loop: Header=BB8_8 Depth=1
	v_dual_mov_b32 v7, v3 :: v_dual_mov_b32 v8, v4
	v_mov_b32_e32 v9, v5
	s_delay_alu instid0(VALU_DEP_2) | instskip(NEXT) | instid1(VALU_DEP_2)
	v_dual_mov_b32 v0, v7 :: v_dual_mov_b32 v1, v8
	v_dual_mov_b32 v2, v9 :: v_dual_mov_b32 v3, v10
; %bb.16:                               ;   in Loop: Header=BB8_8 Depth=1
	s_and_not1_saveexec_b32 s15, s15
; %bb.17:                               ;   in Loop: Header=BB8_8 Depth=1
	s_delay_alu instid0(VALU_DEP_1)
	v_dual_mov_b32 v0, v2 :: v_dual_mov_b32 v1, v3
	v_dual_mov_b32 v2, v4 :: v_dual_mov_b32 v3, v5
; %bb.18:                               ;   in Loop: Header=BB8_8 Depth=1
	s_or_b32 exec_lo, exec_lo, s15
	s_and_not1_saveexec_b32 s14, s14
	s_cbranch_execz .LBB8_10
.LBB8_19:                               ;   in Loop: Header=BB8_8 Depth=1
	s_mov_b32 s15, exec_lo
	v_cmpx_eq_u32_e32 1, v33
; %bb.20:                               ;   in Loop: Header=BB8_8 Depth=1
	v_dual_mov_b32 v0, v1 :: v_dual_mov_b32 v1, v2
	v_dual_mov_b32 v2, v3 :: v_dual_mov_b32 v3, v4
; %bb.21:                               ;   in Loop: Header=BB8_8 Depth=1
	s_or_b32 exec_lo, exec_lo, s15
	s_delay_alu instid0(SALU_CYCLE_1) | instskip(NEXT) | instid1(SALU_CYCLE_1)
	s_or_b32 exec_lo, exec_lo, s14
	s_mov_b32 s14, exec_lo
	v_cmpx_gt_i64_e64 s[4:5], v[13:14]
	s_cbranch_execnz .LBB8_11
	s_branch .LBB8_12
.LBB8_22:
	s_endpgm
.LBB8_23:
                                        ; implicit-def: $sgpr2_sgpr3
	s_branch .LBB8_4
	.section	.rodata,"a",@progbits
	.p2align	6, 0x0
	.amdhsa_kernel _ZN2at6native12_GLOBAL__N_143distribution_elementwise_grid_stride_kernelIfLi4EZNS0_9templates4cuda21uniform_and_transformIN3c104HalfEfPNS_17CUDAGeneratorImplEZZZNS4_14uniform_kernelIS9_EEvRNS_18TensorIteratorBaseEddT_ENKUlvE_clEvENKUlvE1_clEvEUlfE_EEvSC_T1_T2_EUlP25hiprandStatePhilox4_32_10E_ZNS1_27distribution_nullary_kernelIS7_f15HIP_vector_typeIdLj2EES9_SL_SG_EEvSC_SI_RKT3_T4_EUlifE_EEvlNS_15PhiloxCudaStateESH_SI_
		.amdhsa_group_segment_fixed_size 0
		.amdhsa_private_segment_fixed_size 0
		.amdhsa_kernarg_size 328
		.amdhsa_user_sgpr_count 15
		.amdhsa_user_sgpr_dispatch_ptr 0
		.amdhsa_user_sgpr_queue_ptr 0
		.amdhsa_user_sgpr_kernarg_segment_ptr 1
		.amdhsa_user_sgpr_dispatch_id 0
		.amdhsa_user_sgpr_private_segment_size 0
		.amdhsa_wavefront_size32 1
		.amdhsa_uses_dynamic_stack 0
		.amdhsa_enable_private_segment 0
		.amdhsa_system_sgpr_workgroup_id_x 1
		.amdhsa_system_sgpr_workgroup_id_y 0
		.amdhsa_system_sgpr_workgroup_id_z 0
		.amdhsa_system_sgpr_workgroup_info 0
		.amdhsa_system_vgpr_workitem_id 0
		.amdhsa_next_free_vgpr 43
		.amdhsa_next_free_sgpr 23
		.amdhsa_reserve_vcc 1
		.amdhsa_float_round_mode_32 0
		.amdhsa_float_round_mode_16_64 0
		.amdhsa_float_denorm_mode_32 3
		.amdhsa_float_denorm_mode_16_64 3
		.amdhsa_dx10_clamp 1
		.amdhsa_ieee_mode 1
		.amdhsa_fp16_overflow 0
		.amdhsa_workgroup_processor_mode 1
		.amdhsa_memory_ordered 1
		.amdhsa_forward_progress 0
		.amdhsa_shared_vgpr_count 0
		.amdhsa_exception_fp_ieee_invalid_op 0
		.amdhsa_exception_fp_denorm_src 0
		.amdhsa_exception_fp_ieee_div_zero 0
		.amdhsa_exception_fp_ieee_overflow 0
		.amdhsa_exception_fp_ieee_underflow 0
		.amdhsa_exception_fp_ieee_inexact 0
		.amdhsa_exception_int_div_zero 0
	.end_amdhsa_kernel
	.section	.text._ZN2at6native12_GLOBAL__N_143distribution_elementwise_grid_stride_kernelIfLi4EZNS0_9templates4cuda21uniform_and_transformIN3c104HalfEfPNS_17CUDAGeneratorImplEZZZNS4_14uniform_kernelIS9_EEvRNS_18TensorIteratorBaseEddT_ENKUlvE_clEvENKUlvE1_clEvEUlfE_EEvSC_T1_T2_EUlP25hiprandStatePhilox4_32_10E_ZNS1_27distribution_nullary_kernelIS7_f15HIP_vector_typeIdLj2EES9_SL_SG_EEvSC_SI_RKT3_T4_EUlifE_EEvlNS_15PhiloxCudaStateESH_SI_,"axG",@progbits,_ZN2at6native12_GLOBAL__N_143distribution_elementwise_grid_stride_kernelIfLi4EZNS0_9templates4cuda21uniform_and_transformIN3c104HalfEfPNS_17CUDAGeneratorImplEZZZNS4_14uniform_kernelIS9_EEvRNS_18TensorIteratorBaseEddT_ENKUlvE_clEvENKUlvE1_clEvEUlfE_EEvSC_T1_T2_EUlP25hiprandStatePhilox4_32_10E_ZNS1_27distribution_nullary_kernelIS7_f15HIP_vector_typeIdLj2EES9_SL_SG_EEvSC_SI_RKT3_T4_EUlifE_EEvlNS_15PhiloxCudaStateESH_SI_,comdat
.Lfunc_end8:
	.size	_ZN2at6native12_GLOBAL__N_143distribution_elementwise_grid_stride_kernelIfLi4EZNS0_9templates4cuda21uniform_and_transformIN3c104HalfEfPNS_17CUDAGeneratorImplEZZZNS4_14uniform_kernelIS9_EEvRNS_18TensorIteratorBaseEddT_ENKUlvE_clEvENKUlvE1_clEvEUlfE_EEvSC_T1_T2_EUlP25hiprandStatePhilox4_32_10E_ZNS1_27distribution_nullary_kernelIS7_f15HIP_vector_typeIdLj2EES9_SL_SG_EEvSC_SI_RKT3_T4_EUlifE_EEvlNS_15PhiloxCudaStateESH_SI_, .Lfunc_end8-_ZN2at6native12_GLOBAL__N_143distribution_elementwise_grid_stride_kernelIfLi4EZNS0_9templates4cuda21uniform_and_transformIN3c104HalfEfPNS_17CUDAGeneratorImplEZZZNS4_14uniform_kernelIS9_EEvRNS_18TensorIteratorBaseEddT_ENKUlvE_clEvENKUlvE1_clEvEUlfE_EEvSC_T1_T2_EUlP25hiprandStatePhilox4_32_10E_ZNS1_27distribution_nullary_kernelIS7_f15HIP_vector_typeIdLj2EES9_SL_SG_EEvSC_SI_RKT3_T4_EUlifE_EEvlNS_15PhiloxCudaStateESH_SI_
                                        ; -- End function
	.section	.AMDGPU.csdata,"",@progbits
; Kernel info:
; codeLenInByte = 2780
; NumSgprs: 25
; NumVgprs: 43
; ScratchSize: 0
; MemoryBound: 0
; FloatMode: 240
; IeeeMode: 1
; LDSByteSize: 0 bytes/workgroup (compile time only)
; SGPRBlocks: 3
; VGPRBlocks: 5
; NumSGPRsForWavesPerEU: 25
; NumVGPRsForWavesPerEU: 43
; Occupancy: 16
; WaveLimiterHint : 0
; COMPUTE_PGM_RSRC2:SCRATCH_EN: 0
; COMPUTE_PGM_RSRC2:USER_SGPR: 15
; COMPUTE_PGM_RSRC2:TRAP_HANDLER: 0
; COMPUTE_PGM_RSRC2:TGID_X_EN: 1
; COMPUTE_PGM_RSRC2:TGID_Y_EN: 0
; COMPUTE_PGM_RSRC2:TGID_Z_EN: 0
; COMPUTE_PGM_RSRC2:TIDIG_COMP_CNT: 0
	.section	.text._ZN2at6native12_GLOBAL__N_143distribution_elementwise_grid_stride_kernelIfLi4EZNS0_9templates4cuda21uniform_and_transformIN3c104HalfEfPNS_17CUDAGeneratorImplEZZZNS4_14uniform_kernelIS9_EEvRNS_18TensorIteratorBaseEddT_ENKUlvE_clEvENKUlvE1_clEvEUlfE_EEvSC_T1_T2_EUlP25hiprandStatePhilox4_32_10E_ZNS1_27distribution_nullary_kernelIS7_f15HIP_vector_typeIdLj2EES9_SL_SG_EEvSC_SI_RKT3_T4_EUlifE0_EEvlNS_15PhiloxCudaStateESH_SI_,"axG",@progbits,_ZN2at6native12_GLOBAL__N_143distribution_elementwise_grid_stride_kernelIfLi4EZNS0_9templates4cuda21uniform_and_transformIN3c104HalfEfPNS_17CUDAGeneratorImplEZZZNS4_14uniform_kernelIS9_EEvRNS_18TensorIteratorBaseEddT_ENKUlvE_clEvENKUlvE1_clEvEUlfE_EEvSC_T1_T2_EUlP25hiprandStatePhilox4_32_10E_ZNS1_27distribution_nullary_kernelIS7_f15HIP_vector_typeIdLj2EES9_SL_SG_EEvSC_SI_RKT3_T4_EUlifE0_EEvlNS_15PhiloxCudaStateESH_SI_,comdat
	.globl	_ZN2at6native12_GLOBAL__N_143distribution_elementwise_grid_stride_kernelIfLi4EZNS0_9templates4cuda21uniform_and_transformIN3c104HalfEfPNS_17CUDAGeneratorImplEZZZNS4_14uniform_kernelIS9_EEvRNS_18TensorIteratorBaseEddT_ENKUlvE_clEvENKUlvE1_clEvEUlfE_EEvSC_T1_T2_EUlP25hiprandStatePhilox4_32_10E_ZNS1_27distribution_nullary_kernelIS7_f15HIP_vector_typeIdLj2EES9_SL_SG_EEvSC_SI_RKT3_T4_EUlifE0_EEvlNS_15PhiloxCudaStateESH_SI_ ; -- Begin function _ZN2at6native12_GLOBAL__N_143distribution_elementwise_grid_stride_kernelIfLi4EZNS0_9templates4cuda21uniform_and_transformIN3c104HalfEfPNS_17CUDAGeneratorImplEZZZNS4_14uniform_kernelIS9_EEvRNS_18TensorIteratorBaseEddT_ENKUlvE_clEvENKUlvE1_clEvEUlfE_EEvSC_T1_T2_EUlP25hiprandStatePhilox4_32_10E_ZNS1_27distribution_nullary_kernelIS7_f15HIP_vector_typeIdLj2EES9_SL_SG_EEvSC_SI_RKT3_T4_EUlifE0_EEvlNS_15PhiloxCudaStateESH_SI_
	.p2align	8
	.type	_ZN2at6native12_GLOBAL__N_143distribution_elementwise_grid_stride_kernelIfLi4EZNS0_9templates4cuda21uniform_and_transformIN3c104HalfEfPNS_17CUDAGeneratorImplEZZZNS4_14uniform_kernelIS9_EEvRNS_18TensorIteratorBaseEddT_ENKUlvE_clEvENKUlvE1_clEvEUlfE_EEvSC_T1_T2_EUlP25hiprandStatePhilox4_32_10E_ZNS1_27distribution_nullary_kernelIS7_f15HIP_vector_typeIdLj2EES9_SL_SG_EEvSC_SI_RKT3_T4_EUlifE0_EEvlNS_15PhiloxCudaStateESH_SI_,@function
_ZN2at6native12_GLOBAL__N_143distribution_elementwise_grid_stride_kernelIfLi4EZNS0_9templates4cuda21uniform_and_transformIN3c104HalfEfPNS_17CUDAGeneratorImplEZZZNS4_14uniform_kernelIS9_EEvRNS_18TensorIteratorBaseEddT_ENKUlvE_clEvENKUlvE1_clEvEUlfE_EEvSC_T1_T2_EUlP25hiprandStatePhilox4_32_10E_ZNS1_27distribution_nullary_kernelIS7_f15HIP_vector_typeIdLj2EES9_SL_SG_EEvSC_SI_RKT3_T4_EUlifE0_EEvlNS_15PhiloxCudaStateESH_SI_: ; @_ZN2at6native12_GLOBAL__N_143distribution_elementwise_grid_stride_kernelIfLi4EZNS0_9templates4cuda21uniform_and_transformIN3c104HalfEfPNS_17CUDAGeneratorImplEZZZNS4_14uniform_kernelIS9_EEvRNS_18TensorIteratorBaseEddT_ENKUlvE_clEvENKUlvE1_clEvEUlfE_EEvSC_T1_T2_EUlP25hiprandStatePhilox4_32_10E_ZNS1_27distribution_nullary_kernelIS7_f15HIP_vector_typeIdLj2EES9_SL_SG_EEvSC_SI_RKT3_T4_EUlifE0_EEvlNS_15PhiloxCudaStateESH_SI_
; %bb.0:
	s_clause 0x2
	s_load_b64 s[4:5], s[0:1], 0x10
	s_load_b128 s[16:19], s[0:1], 0x0
	s_load_b32 s2, s[0:1], 0x20
	s_waitcnt lgkmcnt(0)
	v_dual_mov_b32 v2, s4 :: v_dual_mov_b32 v3, s5
	v_dual_mov_b32 v11, s18 :: v_dual_mov_b32 v12, s19
	s_bitcmp0_b32 s2, 0
	s_mov_b32 s2, 0
	s_cbranch_scc1 .LBB9_2
; %bb.1:
	v_dual_mov_b32 v1, s4 :: v_dual_mov_b32 v2, s5
	v_dual_mov_b32 v4, s18 :: v_dual_mov_b32 v5, s19
	s_load_b64 s[4:5], s[0:1], 0x18
	flat_load_b64 v[2:3], v[1:2]
	flat_load_b64 v[11:12], v[4:5]
	s_waitcnt vmcnt(1) lgkmcnt(0)
	v_add_co_u32 v2, vcc_lo, v2, s4
	v_add_co_ci_u32_e32 v3, vcc_lo, s5, v3, vcc_lo
.LBB9_2:
	s_clause 0x1
	s_load_b32 s3, s[0:1], 0x154
	s_load_b32 s4, s[0:1], 0x148
	s_waitcnt lgkmcnt(0)
	s_and_b32 s5, s3, 0xffff
	s_add_u32 s6, s16, -1
	s_mul_i32 s26, s4, s5
	s_addc_u32 s3, s17, -1
	s_lshl_b32 s27, s26, 2
	s_cmp_lg_u64 s[2:3], 0
	s_cbranch_scc0 .LBB9_49
; %bb.3:
	v_cvt_f32_ubyte0_e32 v1, 0
	v_cvt_f32_u32_e32 v4, s27
	s_sub_u32 s8, 0, s27
	s_subb_u32 s9, 0, 0
	s_delay_alu instid0(VALU_DEP_1) | instskip(NEXT) | instid1(VALU_DEP_1)
	v_fmamk_f32 v1, v1, 0x4f800000, v4
	v_rcp_f32_e32 v1, v1
	s_waitcnt_depctr 0xfff
	v_mul_f32_e32 v1, 0x5f7ffffc, v1
	s_delay_alu instid0(VALU_DEP_1) | instskip(NEXT) | instid1(VALU_DEP_1)
	v_mul_f32_e32 v4, 0x2f800000, v1
	v_trunc_f32_e32 v4, v4
	s_delay_alu instid0(VALU_DEP_1) | instskip(SKIP_1) | instid1(VALU_DEP_2)
	v_fmamk_f32 v1, v4, 0xcf800000, v1
	v_cvt_u32_f32_e32 v4, v4
	v_cvt_u32_f32_e32 v1, v1
	s_delay_alu instid0(VALU_DEP_2) | instskip(NEXT) | instid1(VALU_DEP_2)
	v_readfirstlane_b32 s2, v4
	v_readfirstlane_b32 s7, v1
	s_delay_alu instid0(VALU_DEP_2) | instskip(NEXT) | instid1(VALU_DEP_1)
	s_mul_i32 s10, s8, s2
	s_mul_hi_u32 s12, s8, s7
	s_mul_i32 s11, s9, s7
	s_add_i32 s10, s12, s10
	s_mul_i32 s13, s8, s7
	s_add_i32 s10, s10, s11
	s_mul_hi_u32 s12, s7, s13
	s_mul_hi_u32 s14, s2, s13
	s_mul_i32 s11, s2, s13
	s_mul_hi_u32 s13, s7, s10
	s_mul_i32 s7, s7, s10
	s_mul_hi_u32 s18, s2, s10
	s_add_u32 s7, s12, s7
	s_addc_u32 s12, 0, s13
	s_add_u32 s7, s7, s11
	s_mul_i32 s10, s2, s10
	s_addc_u32 s7, s12, s14
	s_addc_u32 s11, s18, 0
	s_add_u32 s7, s7, s10
	s_addc_u32 s10, 0, s11
	v_add_co_u32 v1, s7, v1, s7
	s_delay_alu instid0(VALU_DEP_1) | instskip(SKIP_1) | instid1(VALU_DEP_1)
	s_cmp_lg_u32 s7, 0
	s_addc_u32 s2, s2, s10
	v_readfirstlane_b32 s7, v1
	s_mul_i32 s10, s8, s2
	s_delay_alu instid0(VALU_DEP_1)
	s_mul_hi_u32 s11, s8, s7
	s_mul_i32 s9, s9, s7
	s_add_i32 s10, s11, s10
	s_mul_i32 s8, s8, s7
	s_add_i32 s10, s10, s9
	s_mul_hi_u32 s11, s2, s8
	s_mul_i32 s12, s2, s8
	s_mul_hi_u32 s8, s7, s8
	s_mul_hi_u32 s13, s7, s10
	s_mul_i32 s7, s7, s10
	s_mul_hi_u32 s9, s2, s10
	s_add_u32 s7, s8, s7
	s_addc_u32 s8, 0, s13
	s_add_u32 s7, s7, s12
	s_mul_i32 s10, s2, s10
	s_addc_u32 s7, s8, s11
	s_addc_u32 s8, s9, 0
	s_add_u32 s7, s7, s10
	s_addc_u32 s8, 0, s8
	v_add_co_u32 v1, s7, v1, s7
	s_delay_alu instid0(VALU_DEP_1) | instskip(SKIP_2) | instid1(VALU_DEP_1)
	s_cmp_lg_u32 s7, 0
	s_addc_u32 s7, s2, s8
	s_ashr_i32 s8, s3, 31
	v_readfirstlane_b32 s10, v1
	s_add_u32 s2, s6, s8
	s_mov_b32 s9, s8
	s_addc_u32 s3, s3, s8
	s_delay_alu instid0(SALU_CYCLE_1) | instskip(NEXT) | instid1(SALU_CYCLE_1)
	s_xor_b64 s[2:3], s[2:3], s[8:9]
	s_mul_i32 s12, s2, s7
	s_mul_hi_u32 s13, s2, s10
	s_mul_hi_u32 s11, s2, s7
	;; [unrolled: 1-line block ×3, first 2 shown]
	s_mul_i32 s10, s3, s10
	s_add_u32 s12, s13, s12
	s_addc_u32 s11, 0, s11
	s_mul_hi_u32 s14, s3, s7
	s_add_u32 s10, s12, s10
	s_mul_i32 s7, s3, s7
	s_addc_u32 s10, s11, s18
	s_addc_u32 s11, s14, 0
	s_add_u32 s7, s10, s7
	s_addc_u32 s10, 0, s11
	s_mul_i32 s12, s27, s7
	s_add_u32 s11, s7, 1
	v_sub_co_u32 v1, s2, s2, s12
	s_mul_hi_u32 s12, s27, s7
	s_addc_u32 s13, s10, 0
	s_mul_i32 s14, s27, s10
	s_delay_alu instid0(VALU_DEP_1)
	v_sub_co_u32 v4, s18, v1, s27
	s_add_u32 s19, s7, 2
	s_addc_u32 s20, s10, 0
	s_add_i32 s12, s12, s14
	s_cmp_lg_u32 s2, 0
	v_readfirstlane_b32 s2, v4
	s_subb_u32 s3, s3, s12
	s_cmp_lg_u32 s18, 0
	s_subb_u32 s12, s3, 0
	s_delay_alu instid0(VALU_DEP_1) | instskip(SKIP_4) | instid1(SALU_CYCLE_1)
	s_cmp_ge_u32 s2, s27
	s_cselect_b32 s2, -1, 0
	s_cmp_eq_u32 s12, 0
	v_readfirstlane_b32 s12, v1
	s_cselect_b32 s2, s2, -1
	s_cmp_lg_u32 s2, 0
	s_cselect_b32 s2, s19, s11
	s_cselect_b32 s11, s20, s13
	s_cmp_ge_u32 s12, s27
	s_cselect_b32 s12, -1, 0
	s_cmp_eq_u32 s3, 0
	s_cselect_b32 s3, s12, -1
	s_delay_alu instid0(SALU_CYCLE_1) | instskip(SKIP_2) | instid1(SALU_CYCLE_1)
	s_cmp_lg_u32 s3, 0
	s_cselect_b32 s3, s11, s10
	s_cselect_b32 s2, s2, s7
	s_xor_b64 s[2:3], s[2:3], s[8:9]
	s_delay_alu instid0(SALU_CYCLE_1)
	s_sub_u32 s2, s2, s8
	s_subb_u32 s3, s3, s8
	s_cbranch_execnz .LBB9_5
.LBB9_4:
	v_cvt_f32_u32_e32 v1, s27
	s_sub_i32 s3, 0, s27
	s_delay_alu instid0(VALU_DEP_1) | instskip(SKIP_2) | instid1(VALU_DEP_1)
	v_rcp_iflag_f32_e32 v1, v1
	s_waitcnt_depctr 0xfff
	v_mul_f32_e32 v1, 0x4f7ffffe, v1
	v_cvt_u32_f32_e32 v1, v1
	s_delay_alu instid0(VALU_DEP_1) | instskip(NEXT) | instid1(VALU_DEP_1)
	v_readfirstlane_b32 s2, v1
	s_mul_i32 s3, s3, s2
	s_delay_alu instid0(SALU_CYCLE_1) | instskip(NEXT) | instid1(SALU_CYCLE_1)
	s_mul_hi_u32 s3, s2, s3
	s_add_i32 s2, s2, s3
	s_delay_alu instid0(SALU_CYCLE_1) | instskip(NEXT) | instid1(SALU_CYCLE_1)
	s_mul_hi_u32 s2, s6, s2
	s_mul_i32 s3, s2, s27
	s_delay_alu instid0(SALU_CYCLE_1)
	s_sub_i32 s3, s6, s3
	s_add_i32 s6, s2, 1
	s_sub_i32 s7, s3, s27
	s_cmp_ge_u32 s3, s27
	s_cselect_b32 s2, s6, s2
	s_cselect_b32 s3, s7, s3
	s_add_i32 s6, s2, 1
	s_cmp_ge_u32 s3, s27
	s_mov_b32 s3, 0
	s_cselect_b32 s2, s6, s2
.LBB9_5:
	v_mov_b32_e32 v1, 0
	s_add_u32 s2, s2, 1
	s_addc_u32 s3, s3, 0
	s_mul_hi_u32 s6, s26, s2
	s_mul_i32 s3, s26, s3
	v_mad_u64_u32 v[13:14], null, s5, s15, v[0:1]
	s_mul_hi_u32 s4, s4, s5
	s_add_i32 s3, s6, s3
	s_mul_i32 s4, s4, s2
	s_mul_i32 s2, s26, s2
	s_add_i32 s3, s3, s4
	s_mov_b32 s4, exec_lo
	s_lshl_b64 s[2:3], s[2:3], 2
	s_delay_alu instid0(SALU_CYCLE_1)
	v_cmpx_gt_i64_e64 s[2:3], v[13:14]
	s_cbranch_execz .LBB9_48
; %bb.6:
	v_alignbit_b32 v17, v3, v2, 2
	v_mad_u64_u32 v[4:5], null, 0xcd9e8d57, v13, 0
	v_lshrrev_b32_e32 v18, 2, v3
	s_waitcnt vmcnt(0)
	v_dual_mov_b32 v9, v12 :: v_dual_and_b32 v26, 3, v2
	v_mad_u64_u32 v[0:1], null, 0xd2511f53, v17, 0
	v_add_co_u32 v20, null, 0x9e3779b9, v11
	v_xor3_b32 v3, v11, v5, v18
	s_delay_alu instid0(VALU_DEP_4) | instskip(SKIP_2) | instid1(VALU_DEP_4)
	v_add_co_u32 v19, null, 0xbb67ae85, v9
	v_add_co_u32 v21, null, 0x3c6ef372, v11
	v_xor_b32_e32 v1, v1, v12
	v_mad_u64_u32 v[5:6], null, 0xd2511f53, v3, 0
	v_add_co_u32 v22, null, 0x76cf5d0a, v9
	s_delay_alu instid0(VALU_DEP_3) | instskip(SKIP_2) | instid1(VALU_DEP_3)
	v_xor_b32_e32 v1, v1, v14
	v_add_co_u32 v23, null, 0x32370b8f, v9
	v_add_co_u32 v24, null, 0xdaa66d2b, v11
	v_mad_u64_u32 v[7:8], null, 0xcd9e8d57, v1, 0
	v_xor3_b32 v3, v19, v6, v0
	v_add_co_u32 v25, null, 0x78dde6e4, v11
	v_add_co_u32 v27, null, 0xed9eba14, v9
	s_delay_alu instid0(VALU_DEP_3) | instskip(SKIP_3) | instid1(VALU_DEP_3)
	v_mad_u64_u32 v[0:1], null, 0xcd9e8d57, v3, 0
	v_xor3_b32 v6, v20, v8, v4
	v_add_co_u32 v30, null, 0xa9066899, v9
	v_add_co_u32 v31, null, 0x1715609d, v11
	v_mad_u64_u32 v[3:4], null, 0xd2511f53, v6, 0
	v_xor3_b32 v1, v21, v1, v7
	v_add_co_u32 v33, null, 0xb54cda56, v11
	v_add_co_u32 v35, null, 0x646e171e, v9
	s_load_b256 s[4:11], s[0:1], 0x30
	s_delay_alu instid0(VALU_DEP_4) | instskip(SKIP_2) | instid1(VALU_DEP_3)
	v_xor3_b32 v8, v22, v4, v5
	v_mad_u64_u32 v[4:5], null, 0xd2511f53, v1, 0
	v_add_co_u32 v32, null, 0x5384540f, v11
	v_mad_u64_u32 v[6:7], null, 0xcd9e8d57, v8, 0
	v_add_co_u32 v37, null, 0x1fd5c5a3, v9
	s_delay_alu instid0(VALU_DEP_4) | instskip(SKIP_4) | instid1(VALU_DEP_4)
	v_xor3_b32 v3, v23, v5, v3
	s_clause 0x1
	s_load_b64 s[20:21], s[0:1], 0xf4
	s_load_b128 s[12:15], s[0:1], 0x138
	v_add_co_u32 v34, null, 0xf1bbcdc8, v11
	v_xor3_b32 v5, v24, v7, v0
	v_mad_u64_u32 v[0:1], null, 0xcd9e8d57, v3, 0
	v_add_co_u32 v38, null, 0xdb3d7428, v9
	s_delay_alu instid0(VALU_DEP_3) | instskip(SKIP_2) | instid1(VALU_DEP_3)
	v_mad_u64_u32 v[7:8], null, 0xd2511f53, v5, 0
	s_add_u32 s18, s0, 48
	s_addc_u32 s19, s1, 0
	v_xor3_b32 v3, v25, v1, v6
	s_waitcnt lgkmcnt(0)
	s_add_i32 s22, s4, -1
	v_dual_mov_b32 v36, v13 :: v_dual_add_nc_u32 v29, 0x96a522ad, v12
	s_delay_alu instid0(VALU_DEP_3) | instskip(SKIP_3) | instid1(VALU_DEP_3)
	v_xor3_b32 v5, v27, v8, v4
	v_mad_u64_u32 v[1:2], null, 0xd2511f53, v3, 0
	s_cmp_gt_u32 s22, 1
	v_cvt_f32_f16_e32 v39, s15
	v_mad_u64_u32 v[3:4], null, 0xcd9e8d57, v5, 0
	s_cselect_b32 s11, -1, 0
	s_cmp_lg_u32 s4, 0
	s_delay_alu instid0(VALU_DEP_3) | instskip(SKIP_3) | instid1(VALU_DEP_2)
	v_xor3_b32 v2, v30, v2, v7
	s_cselect_b32 s29, -1, 0
	s_add_u32 s0, s0, 0xf4
	s_addc_u32 s1, s1, 0
	v_xor3_b32 v0, v31, v4, v0
	v_mad_u64_u32 v[4:5], null, 0xcd9e8d57, v2, 0
	s_min_u32 s23, s22, 15
	s_cmp_gt_u32 s4, 1
	s_delay_alu instid0(VALU_DEP_2) | instskip(SKIP_2) | instid1(VALU_DEP_2)
	v_mad_u64_u32 v[6:7], null, 0xd2511f53, v0, 0
	s_cselect_b32 s4, -1, 0
	s_add_i32 s23, s23, 1
	v_xor3_b32 v2, v33, v5, v3
	s_lshr_b32 s30, s15, 16
	s_and_b32 s31, s23, 3
	s_cmp_lg_u32 s22, 2
	s_delay_alu instid0(VALU_DEP_2) | instskip(SKIP_3) | instid1(VALU_DEP_2)
	v_xor3_b32 v5, v35, v7, v1
	v_mad_u64_u32 v[0:1], null, 0xd2511f53, v2, 0
	s_cselect_b32 s33, -1, 0
	s_and_b32 s34, s23, 28
	v_mad_u64_u32 v[2:3], null, 0xcd9e8d57, v5, 0
	v_mov_b32_e32 v40, v14
	s_cmp_lg_u32 s31, 0
	s_delay_alu instid0(VALU_DEP_3) | instskip(SKIP_2) | instid1(VALU_DEP_3)
	v_xor3_b32 v1, v37, v1, v6
	s_mov_b32 s28, 0
	s_cselect_b32 s35, -1, 0
	v_xor3_b32 v3, v32, v3, v4
	s_delay_alu instid0(VALU_DEP_2) | instskip(NEXT) | instid1(VALU_DEP_2)
	v_mad_u64_u32 v[4:5], null, 0xcd9e8d57, v1, 0
	v_mad_u64_u32 v[6:7], null, 0xd2511f53, v3, 0
	s_delay_alu instid0(VALU_DEP_2) | instskip(NEXT) | instid1(VALU_DEP_2)
	v_xor3_b32 v1, v34, v5, v2
	v_xor3_b32 v0, v38, v7, v0
	s_delay_alu instid0(VALU_DEP_2) | instskip(SKIP_1) | instid1(VALU_DEP_3)
	v_mad_u64_u32 v[7:8], null, 0xd2511f53, v1, 0
	v_add_nc_u32_e32 v28, 0x8ff34781, v11
	v_mad_u64_u32 v[1:2], null, 0xcd9e8d57, v0, 0
	s_delay_alu instid0(VALU_DEP_3) | instskip(NEXT) | instid1(VALU_DEP_2)
	v_mov_b32_e32 v3, v7
	v_xor3_b32 v0, v2, v4, v28
	v_xor3_b32 v2, v8, v6, v29
	s_branch .LBB9_9
.LBB9_7:                                ;   in Loop: Header=BB9_9 Depth=1
	v_lshrrev_b32_e32 v0, 11, v3
	v_cvt_f64_u32_e32 v[2:3], v2
	s_delay_alu instid0(VALU_DEP_2) | instskip(NEXT) | instid1(VALU_DEP_1)
	v_cvt_f64_u32_e32 v[7:8], v0
	v_ldexp_f64 v[7:8], v[7:8], 32
	s_delay_alu instid0(VALU_DEP_1) | instskip(NEXT) | instid1(VALU_DEP_1)
	v_add_f64 v[2:3], v[7:8], v[2:3]
	v_fma_f64 v[2:3], 0x3ca00000, v[2:3], 0x3ca00000
	s_delay_alu instid0(VALU_DEP_1) | instskip(NEXT) | instid1(VALU_DEP_1)
	v_cvt_f32_f64_e32 v0, v[2:3]
	v_fma_mixlo_f16 v0, s14, v0, v39
	s_delay_alu instid0(VALU_DEP_1)
	v_cmp_eq_f16_e32 vcc_lo, s30, v0
	v_cndmask_b32_e64 v0, v0, s15, vcc_lo
	global_store_b16 v1, v0, s[12:13]
.LBB9_8:                                ;   in Loop: Header=BB9_9 Depth=1
	s_or_b32 exec_lo, exec_lo, s36
	v_add_co_u32 v13, vcc_lo, v13, s27
	v_add_co_ci_u32_e32 v14, vcc_lo, 0, v14, vcc_lo
	v_mov_b32_e32 v7, v15
	v_dual_mov_b32 v0, v4 :: v_dual_mov_b32 v1, v5
	s_delay_alu instid0(VALU_DEP_3) | instskip(NEXT) | instid1(VALU_DEP_3)
	v_cmp_le_i64_e32 vcc_lo, s[2:3], v[13:14]
	v_dual_mov_b32 v2, v6 :: v_dual_mov_b32 v3, v7
	s_waitcnt_vscnt null, 0x0
	s_barrier
	buffer_gl0_inv
	s_or_b32 s28, vcc_lo, s28
	s_delay_alu instid0(SALU_CYCLE_1)
	s_and_not1_b32 exec_lo, exec_lo, s28
	s_cbranch_execz .LBB9_48
.LBB9_9:                                ; =>This Loop Header: Depth=1
                                        ;     Child Loop BB9_24 Depth 2
                                        ;     Child Loop BB9_29 Depth 2
	;; [unrolled: 1-line block ×4, first 2 shown]
	v_add_co_u32 v17, vcc_lo, v17, 1
	s_delay_alu instid0(VALU_DEP_1) | instskip(SKIP_2) | instid1(VALU_DEP_1)
	v_cndmask_b32_e64 v4, 0, 1, vcc_lo
	v_add_co_ci_u32_e32 v18, vcc_lo, 0, v18, vcc_lo
	s_mov_b32 s22, exec_lo
	v_cmp_eq_u32_e32 vcc_lo, 0, v18
	s_delay_alu instid0(VALU_DEP_3) | instskip(NEXT) | instid1(VALU_DEP_1)
	v_cndmask_b32_e32 v4, 0, v4, vcc_lo
	v_add_nc_u32_e32 v36, v4, v36
	s_delay_alu instid0(VALU_DEP_1) | instskip(SKIP_2) | instid1(VALU_DEP_2)
	v_cmp_eq_u32_e32 vcc_lo, 0, v36
	v_mad_u64_u32 v[6:7], null, 0xcd9e8d57, v36, 0
	v_cndmask_b32_e32 v4, 0, v4, vcc_lo
	v_xor3_b32 v9, v7, v11, v18
	s_delay_alu instid0(VALU_DEP_2) | instskip(SKIP_1) | instid1(VALU_DEP_3)
	v_add_nc_u32_e32 v40, v4, v40
	v_mad_u64_u32 v[4:5], null, 0xd2511f53, v17, 0
	v_mad_u64_u32 v[7:8], null, 0xd2511f53, v9, 0
	s_delay_alu instid0(VALU_DEP_2) | instskip(NEXT) | instid1(VALU_DEP_2)
	v_xor_b32_e32 v5, v5, v12
	v_xor3_b32 v8, v19, v8, v4
	s_delay_alu instid0(VALU_DEP_2) | instskip(NEXT) | instid1(VALU_DEP_1)
	v_xor_b32_e32 v5, v40, v5
	v_mad_u64_u32 v[9:10], null, 0xcd9e8d57, v5, 0
	s_delay_alu instid0(VALU_DEP_3) | instskip(NEXT) | instid1(VALU_DEP_2)
	v_mad_u64_u32 v[4:5], null, 0xcd9e8d57, v8, 0
	v_xor3_b32 v6, v20, v10, v6
	s_delay_alu instid0(VALU_DEP_2) | instskip(NEXT) | instid1(VALU_DEP_2)
	v_xor3_b32 v8, v21, v5, v9
	v_mad_u64_u32 v[15:16], null, 0xd2511f53, v6, 0
	s_delay_alu instid0(VALU_DEP_2) | instskip(NEXT) | instid1(VALU_DEP_2)
	v_mad_u64_u32 v[5:6], null, 0xd2511f53, v8, 0
	v_xor3_b32 v9, v22, v16, v7
	s_delay_alu instid0(VALU_DEP_2) | instskip(NEXT) | instid1(VALU_DEP_2)
	v_xor3_b32 v6, v23, v6, v15
	v_mad_u64_u32 v[7:8], null, 0xcd9e8d57, v9, 0
	s_delay_alu instid0(VALU_DEP_1) | instskip(NEXT) | instid1(VALU_DEP_3)
	v_xor3_b32 v4, v24, v8, v4
	v_mad_u64_u32 v[8:9], null, 0xcd9e8d57, v6, 0
	s_delay_alu instid0(VALU_DEP_2) | instskip(NEXT) | instid1(VALU_DEP_2)
	v_mad_u64_u32 v[15:16], null, 0xd2511f53, v4, 0
	v_xor3_b32 v6, v25, v9, v7
	s_delay_alu instid0(VALU_DEP_2) | instskip(NEXT) | instid1(VALU_DEP_2)
	v_xor3_b32 v9, v27, v16, v5
	v_mad_u64_u32 v[4:5], null, 0xd2511f53, v6, 0
	s_delay_alu instid0(VALU_DEP_2) | instskip(NEXT) | instid1(VALU_DEP_2)
	v_mad_u64_u32 v[6:7], null, 0xcd9e8d57, v9, 0
	v_xor3_b32 v5, v30, v5, v15
	s_delay_alu instid0(VALU_DEP_2) | instskip(NEXT) | instid1(VALU_DEP_2)
	;; [unrolled: 6-line block ×6, first 2 shown]
	v_xor3_b32 v4, v6, v7, v28
	v_mov_b32_e32 v6, v10
	v_cmpx_lt_i32_e32 1, v26
	s_xor_b32 s22, exec_lo, s22
	s_cbranch_execnz .LBB9_12
; %bb.10:                               ;   in Loop: Header=BB9_9 Depth=1
	s_and_not1_saveexec_b32 s22, s22
	s_cbranch_execnz .LBB9_17
.LBB9_11:                               ;   in Loop: Header=BB9_9 Depth=1
	s_or_b32 exec_lo, exec_lo, s22
	s_delay_alu instid0(SALU_CYCLE_1)
	s_mov_b32 s36, exec_lo
	v_cmpx_gt_i64_e64 s[16:17], v[13:14]
	s_cbranch_execnz .LBB9_20
	s_branch .LBB9_34
.LBB9_12:                               ;   in Loop: Header=BB9_9 Depth=1
	s_mov_b32 s23, exec_lo
	v_cmpx_lt_i32_e32 2, v26
	s_xor_b32 s23, exec_lo, s23
; %bb.13:                               ;   in Loop: Header=BB9_9 Depth=1
	v_dual_mov_b32 v7, v3 :: v_dual_mov_b32 v8, v4
	v_mov_b32_e32 v9, v5
	s_delay_alu instid0(VALU_DEP_2) | instskip(NEXT) | instid1(VALU_DEP_2)
	v_dual_mov_b32 v0, v7 :: v_dual_mov_b32 v1, v8
	v_dual_mov_b32 v2, v9 :: v_dual_mov_b32 v3, v10
; %bb.14:                               ;   in Loop: Header=BB9_9 Depth=1
	s_and_not1_saveexec_b32 s23, s23
; %bb.15:                               ;   in Loop: Header=BB9_9 Depth=1
	s_delay_alu instid0(VALU_DEP_1)
	v_dual_mov_b32 v0, v2 :: v_dual_mov_b32 v1, v3
	v_dual_mov_b32 v2, v4 :: v_dual_mov_b32 v3, v5
; %bb.16:                               ;   in Loop: Header=BB9_9 Depth=1
	s_or_b32 exec_lo, exec_lo, s23
	s_and_not1_saveexec_b32 s22, s22
	s_cbranch_execz .LBB9_11
.LBB9_17:                               ;   in Loop: Header=BB9_9 Depth=1
	s_mov_b32 s23, exec_lo
	v_cmpx_eq_u32_e32 1, v26
; %bb.18:                               ;   in Loop: Header=BB9_9 Depth=1
	v_dual_mov_b32 v0, v1 :: v_dual_mov_b32 v1, v2
	v_dual_mov_b32 v2, v3 :: v_dual_mov_b32 v3, v4
; %bb.19:                               ;   in Loop: Header=BB9_9 Depth=1
	s_or_b32 exec_lo, exec_lo, s23
	s_delay_alu instid0(SALU_CYCLE_1) | instskip(NEXT) | instid1(SALU_CYCLE_1)
	s_or_b32 exec_lo, exec_lo, s22
	s_mov_b32 s36, exec_lo
	v_cmpx_gt_i64_e64 s[16:17], v[13:14]
	s_cbranch_execz .LBB9_34
.LBB9_20:                               ;   in Loop: Header=BB9_9 Depth=1
	s_and_not1_b32 vcc_lo, exec_lo, s11
	s_cbranch_vccnz .LBB9_26
; %bb.21:                               ;   in Loop: Header=BB9_9 Depth=1
	v_mov_b32_e32 v7, 0
	s_and_not1_b32 vcc_lo, exec_lo, s29
	s_cbranch_vccnz .LBB9_30
; %bb.22:                               ;   in Loop: Header=BB9_9 Depth=1
	s_and_not1_b32 vcc_lo, exec_lo, s33
	s_mov_b32 s22, 0
	s_cbranch_vccnz .LBB9_27
; %bb.23:                               ;   in Loop: Header=BB9_9 Depth=1
	v_dual_mov_b32 v7, 0 :: v_dual_mov_b32 v8, v13
	s_mov_b32 s37, 0
	s_mov_b64 s[22:23], s[18:19]
	s_mov_b64 s[24:25], s[0:1]
.LBB9_24:                               ;   Parent Loop BB9_9 Depth=1
                                        ; =>  This Inner Loop Header: Depth=2
	s_clause 0x1
	s_load_b256 s[40:47], s[22:23], 0x4
	s_load_b128 s[48:51], s[22:23], 0x24
	s_load_b128 s[52:55], s[24:25], 0x0
	s_add_u32 s22, s22, 48
	s_addc_u32 s23, s23, 0
	s_add_i32 s37, s37, 4
	s_add_u32 s24, s24, 16
	s_addc_u32 s25, s25, 0
	s_cmp_lg_u32 s34, s37
	s_waitcnt lgkmcnt(0)
	v_mul_hi_u32 v9, s41, v8
	s_delay_alu instid0(VALU_DEP_1) | instskip(NEXT) | instid1(VALU_DEP_1)
	v_add_nc_u32_e32 v9, v8, v9
	v_lshrrev_b32_e32 v9, s42, v9
	s_delay_alu instid0(VALU_DEP_1) | instskip(SKIP_1) | instid1(VALU_DEP_2)
	v_mul_hi_u32 v10, s44, v9
	v_mul_lo_u32 v42, v9, s40
	v_add_nc_u32_e32 v10, v9, v10
	s_delay_alu instid0(VALU_DEP_2) | instskip(NEXT) | instid1(VALU_DEP_2)
	v_sub_nc_u32_e32 v42, v8, v42
	v_lshrrev_b32_e32 v10, s45, v10
	s_delay_alu instid0(VALU_DEP_2) | instskip(NEXT) | instid1(VALU_DEP_2)
	v_mul_lo_u32 v42, v42, s52
	v_mul_hi_u32 v16, s47, v10
	v_mul_lo_u32 v43, v10, s43
	s_delay_alu instid0(VALU_DEP_2) | instskip(NEXT) | instid1(VALU_DEP_2)
	v_add_nc_u32_e32 v16, v10, v16
	v_sub_nc_u32_e32 v9, v9, v43
	s_delay_alu instid0(VALU_DEP_2) | instskip(NEXT) | instid1(VALU_DEP_2)
	v_lshrrev_b32_e32 v16, s48, v16
	v_mul_lo_u32 v9, v9, s53
	s_delay_alu instid0(VALU_DEP_2) | instskip(NEXT) | instid1(VALU_DEP_2)
	v_mul_hi_u32 v41, s50, v16
	v_add3_u32 v7, v42, v7, v9
	s_delay_alu instid0(VALU_DEP_2) | instskip(NEXT) | instid1(VALU_DEP_1)
	v_add_nc_u32_e32 v41, v16, v41
	v_lshrrev_b32_e32 v8, s51, v41
	v_mul_lo_u32 v41, v16, s46
	s_delay_alu instid0(VALU_DEP_2) | instskip(NEXT) | instid1(VALU_DEP_2)
	v_mul_lo_u32 v44, v8, s49
	v_sub_nc_u32_e32 v10, v10, v41
	s_delay_alu instid0(VALU_DEP_2) | instskip(NEXT) | instid1(VALU_DEP_2)
	v_sub_nc_u32_e32 v16, v16, v44
	v_mul_lo_u32 v10, v10, s54
	s_delay_alu instid0(VALU_DEP_2) | instskip(NEXT) | instid1(VALU_DEP_1)
	v_mul_lo_u32 v16, v16, s55
	v_add3_u32 v7, v10, v7, v16
	s_cbranch_scc1 .LBB9_24
; %bb.25:                               ;   in Loop: Header=BB9_9 Depth=1
	s_mov_b32 s22, s34
	s_and_not1_b32 vcc_lo, exec_lo, s35
	s_cbranch_vccz .LBB9_28
	s_branch .LBB9_30
.LBB9_26:                               ;   in Loop: Header=BB9_9 Depth=1
                                        ; implicit-def: $vgpr7
	s_branch .LBB9_31
.LBB9_27:                               ;   in Loop: Header=BB9_9 Depth=1
	v_mov_b32_e32 v8, v13
	s_and_not1_b32 vcc_lo, exec_lo, s35
	s_cbranch_vccnz .LBB9_30
.LBB9_28:                               ;   in Loop: Header=BB9_9 Depth=1
	s_lshl_b32 s23, s22, 2
	s_mul_i32 s24, s22, 12
	s_add_u32 s22, s0, s23
	s_addc_u32 s23, s1, 0
	s_add_u32 s24, s18, s24
	s_addc_u32 s25, s19, 0
	s_mov_b32 s37, s31
	.p2align	6
.LBB9_29:                               ;   Parent Loop BB9_9 Depth=1
                                        ; =>  This Inner Loop Header: Depth=2
	s_clause 0x1
	s_load_b64 s[38:39], s[24:25], 0x4
	s_load_b32 s40, s[24:25], 0xc
	s_add_u32 s24, s24, 12
	s_addc_u32 s25, s25, 0
	s_waitcnt lgkmcnt(0)
	v_mul_hi_u32 v9, s39, v8
	s_load_b32 s39, s[22:23], 0x0
	s_add_u32 s22, s22, 4
	s_addc_u32 s23, s23, 0
	s_add_i32 s37, s37, -1
	s_delay_alu instid0(SALU_CYCLE_1) | instskip(NEXT) | instid1(VALU_DEP_1)
	s_cmp_lg_u32 s37, 0
	v_add_nc_u32_e32 v9, v8, v9
	s_delay_alu instid0(VALU_DEP_1) | instskip(NEXT) | instid1(VALU_DEP_1)
	v_lshrrev_b32_e32 v16, s40, v9
	v_mul_lo_u32 v9, v16, s38
	s_delay_alu instid0(VALU_DEP_1) | instskip(SKIP_1) | instid1(VALU_DEP_1)
	v_sub_nc_u32_e32 v8, v8, v9
	s_waitcnt lgkmcnt(0)
	v_mad_u64_u32 v[9:10], null, v8, s39, v[7:8]
	s_delay_alu instid0(VALU_DEP_1)
	v_dual_mov_b32 v8, v16 :: v_dual_mov_b32 v7, v9
	s_cbranch_scc1 .LBB9_29
.LBB9_30:                               ;   in Loop: Header=BB9_9 Depth=1
	s_cbranch_execnz .LBB9_33
.LBB9_31:                               ;   in Loop: Header=BB9_9 Depth=1
	v_mul_hi_u32 v7, v13, s6
	s_and_not1_b32 vcc_lo, exec_lo, s4
	s_delay_alu instid0(VALU_DEP_1) | instskip(NEXT) | instid1(VALU_DEP_1)
	v_add_nc_u32_e32 v7, v7, v13
	v_lshrrev_b32_e32 v8, s7, v7
	s_delay_alu instid0(VALU_DEP_1) | instskip(NEXT) | instid1(VALU_DEP_1)
	v_mul_lo_u32 v7, v8, s5
	v_sub_nc_u32_e32 v7, v13, v7
	s_delay_alu instid0(VALU_DEP_1)
	v_mul_lo_u32 v7, v7, s20
	s_cbranch_vccnz .LBB9_33
; %bb.32:                               ;   in Loop: Header=BB9_9 Depth=1
	v_mul_hi_u32 v9, s9, v8
	s_delay_alu instid0(VALU_DEP_1) | instskip(NEXT) | instid1(VALU_DEP_1)
	v_add_nc_u32_e32 v9, v8, v9
	v_lshrrev_b32_e32 v9, s10, v9
	s_delay_alu instid0(VALU_DEP_1) | instskip(NEXT) | instid1(VALU_DEP_1)
	v_mul_lo_u32 v9, v9, s8
	v_sub_nc_u32_e32 v10, v8, v9
	s_delay_alu instid0(VALU_DEP_1) | instskip(NEXT) | instid1(VALU_DEP_1)
	v_mad_u64_u32 v[8:9], null, v10, s21, v[7:8]
	v_mov_b32_e32 v7, v8
.LBB9_33:                               ;   in Loop: Header=BB9_9 Depth=1
	v_lshrrev_b32_e32 v1, 11, v1
	s_delay_alu instid0(VALU_DEP_1) | instskip(SKIP_1) | instid1(VALU_DEP_2)
	v_cvt_f64_u32_e32 v[8:9], v1
	v_cvt_f64_u32_e32 v[0:1], v0
	v_ldexp_f64 v[8:9], v[8:9], 32
	s_delay_alu instid0(VALU_DEP_1) | instskip(NEXT) | instid1(VALU_DEP_1)
	v_add_f64 v[0:1], v[8:9], v[0:1]
	v_fma_f64 v[0:1], 0x3ca00000, v[0:1], 0x3ca00000
	s_delay_alu instid0(VALU_DEP_1) | instskip(NEXT) | instid1(VALU_DEP_1)
	v_cvt_f32_f64_e32 v0, v[0:1]
	v_fma_mixlo_f16 v0, s14, v0, v39
	s_delay_alu instid0(VALU_DEP_1)
	v_cmp_eq_f16_e32 vcc_lo, s30, v0
	v_cndmask_b32_e64 v0, v0, s15, vcc_lo
	global_store_b16 v7, v0, s[12:13]
.LBB9_34:                               ;   in Loop: Header=BB9_9 Depth=1
	s_or_b32 exec_lo, exec_lo, s36
	v_add_co_u32 v0, vcc_lo, v13, s26
	v_add_co_ci_u32_e32 v1, vcc_lo, 0, v14, vcc_lo
	s_mov_b32 s36, exec_lo
	s_delay_alu instid0(VALU_DEP_1)
	v_cmpx_gt_i64_e64 s[16:17], v[0:1]
	s_cbranch_execz .LBB9_8
; %bb.35:                               ;   in Loop: Header=BB9_9 Depth=1
	s_and_not1_b32 vcc_lo, exec_lo, s11
	s_cbranch_vccnz .LBB9_41
; %bb.36:                               ;   in Loop: Header=BB9_9 Depth=1
	v_mov_b32_e32 v1, 0
	s_and_not1_b32 vcc_lo, exec_lo, s29
	s_cbranch_vccnz .LBB9_45
; %bb.37:                               ;   in Loop: Header=BB9_9 Depth=1
	s_and_not1_b32 vcc_lo, exec_lo, s33
	s_mov_b32 s22, 0
	s_cbranch_vccnz .LBB9_42
; %bb.38:                               ;   in Loop: Header=BB9_9 Depth=1
	v_mov_b32_e32 v1, 0
	v_mov_b32_e32 v7, v0
	s_mov_b32 s37, 0
	s_mov_b64 s[22:23], s[18:19]
	s_mov_b64 s[24:25], s[0:1]
.LBB9_39:                               ;   Parent Loop BB9_9 Depth=1
                                        ; =>  This Inner Loop Header: Depth=2
	s_clause 0x1
	s_load_b256 s[40:47], s[22:23], 0x4
	s_load_b128 s[48:51], s[22:23], 0x24
	s_load_b128 s[52:55], s[24:25], 0x0
	s_add_u32 s22, s22, 48
	s_addc_u32 s23, s23, 0
	s_add_i32 s37, s37, 4
	s_add_u32 s24, s24, 16
	s_addc_u32 s25, s25, 0
	s_cmp_eq_u32 s34, s37
	s_waitcnt lgkmcnt(0)
	v_mul_hi_u32 v8, s41, v7
	s_delay_alu instid0(VALU_DEP_1) | instskip(NEXT) | instid1(VALU_DEP_1)
	v_add_nc_u32_e32 v8, v7, v8
	v_lshrrev_b32_e32 v8, s42, v8
	s_delay_alu instid0(VALU_DEP_1) | instskip(SKIP_1) | instid1(VALU_DEP_2)
	v_mul_hi_u32 v9, s44, v8
	v_mul_lo_u32 v41, v8, s40
	v_add_nc_u32_e32 v9, v8, v9
	s_delay_alu instid0(VALU_DEP_2) | instskip(NEXT) | instid1(VALU_DEP_2)
	v_sub_nc_u32_e32 v41, v7, v41
	v_lshrrev_b32_e32 v9, s45, v9
	s_delay_alu instid0(VALU_DEP_2) | instskip(NEXT) | instid1(VALU_DEP_2)
	v_mul_lo_u32 v41, v41, s52
	v_mul_hi_u32 v10, s47, v9
	v_mul_lo_u32 v42, v9, s43
	s_delay_alu instid0(VALU_DEP_2) | instskip(NEXT) | instid1(VALU_DEP_2)
	v_add_nc_u32_e32 v10, v9, v10
	v_sub_nc_u32_e32 v8, v8, v42
	s_delay_alu instid0(VALU_DEP_2) | instskip(NEXT) | instid1(VALU_DEP_2)
	v_lshrrev_b32_e32 v10, s48, v10
	v_mul_lo_u32 v8, v8, s53
	s_delay_alu instid0(VALU_DEP_2) | instskip(NEXT) | instid1(VALU_DEP_2)
	v_mul_hi_u32 v16, s50, v10
	v_add3_u32 v1, v41, v1, v8
	s_delay_alu instid0(VALU_DEP_2) | instskip(NEXT) | instid1(VALU_DEP_1)
	v_add_nc_u32_e32 v16, v10, v16
	v_lshrrev_b32_e32 v7, s51, v16
	v_mul_lo_u32 v16, v10, s46
	s_delay_alu instid0(VALU_DEP_2) | instskip(NEXT) | instid1(VALU_DEP_2)
	v_mul_lo_u32 v43, v7, s49
	v_sub_nc_u32_e32 v9, v9, v16
	s_delay_alu instid0(VALU_DEP_2) | instskip(NEXT) | instid1(VALU_DEP_2)
	v_sub_nc_u32_e32 v10, v10, v43
	v_mul_lo_u32 v9, v9, s54
	s_delay_alu instid0(VALU_DEP_2) | instskip(NEXT) | instid1(VALU_DEP_1)
	v_mul_lo_u32 v10, v10, s55
	v_add3_u32 v1, v9, v1, v10
	s_cbranch_scc0 .LBB9_39
; %bb.40:                               ;   in Loop: Header=BB9_9 Depth=1
	s_mov_b32 s22, s34
	s_and_not1_b32 vcc_lo, exec_lo, s35
	s_cbranch_vccz .LBB9_43
	s_branch .LBB9_45
.LBB9_41:                               ;   in Loop: Header=BB9_9 Depth=1
                                        ; implicit-def: $vgpr1
	s_branch .LBB9_46
.LBB9_42:                               ;   in Loop: Header=BB9_9 Depth=1
	v_mov_b32_e32 v7, v0
	s_and_not1_b32 vcc_lo, exec_lo, s35
	s_cbranch_vccnz .LBB9_45
.LBB9_43:                               ;   in Loop: Header=BB9_9 Depth=1
	s_lshl_b32 s23, s22, 2
	s_mul_i32 s24, s22, 12
	s_add_u32 s22, s0, s23
	s_addc_u32 s23, s1, 0
	s_add_u32 s24, s18, s24
	s_addc_u32 s25, s19, 0
	s_mov_b32 s37, s31
	.p2align	6
.LBB9_44:                               ;   Parent Loop BB9_9 Depth=1
                                        ; =>  This Inner Loop Header: Depth=2
	s_clause 0x1
	s_load_b64 s[38:39], s[24:25], 0x4
	s_load_b32 s40, s[24:25], 0xc
	s_add_u32 s24, s24, 12
	s_addc_u32 s25, s25, 0
	s_waitcnt lgkmcnt(0)
	v_mul_hi_u32 v8, s39, v7
	s_load_b32 s39, s[22:23], 0x0
	s_add_u32 s22, s22, 4
	s_addc_u32 s23, s23, 0
	s_add_i32 s37, s37, -1
	s_delay_alu instid0(SALU_CYCLE_1) | instskip(NEXT) | instid1(VALU_DEP_1)
	s_cmp_lg_u32 s37, 0
	v_add_nc_u32_e32 v8, v7, v8
	s_delay_alu instid0(VALU_DEP_1) | instskip(NEXT) | instid1(VALU_DEP_1)
	v_lshrrev_b32_e32 v10, s40, v8
	v_mul_lo_u32 v8, v10, s38
	s_delay_alu instid0(VALU_DEP_1) | instskip(SKIP_1) | instid1(VALU_DEP_1)
	v_sub_nc_u32_e32 v7, v7, v8
	s_waitcnt lgkmcnt(0)
	v_mad_u64_u32 v[8:9], null, v7, s39, v[1:2]
	v_mov_b32_e32 v7, v10
	s_delay_alu instid0(VALU_DEP_2)
	v_mov_b32_e32 v1, v8
	s_cbranch_scc1 .LBB9_44
.LBB9_45:                               ;   in Loop: Header=BB9_9 Depth=1
	s_cbranch_execnz .LBB9_7
.LBB9_46:                               ;   in Loop: Header=BB9_9 Depth=1
	v_mul_hi_u32 v1, v0, s6
	s_and_not1_b32 vcc_lo, exec_lo, s4
	s_delay_alu instid0(VALU_DEP_1) | instskip(NEXT) | instid1(VALU_DEP_1)
	v_add_nc_u32_e32 v1, v1, v0
	v_lshrrev_b32_e32 v7, s7, v1
	s_delay_alu instid0(VALU_DEP_1) | instskip(NEXT) | instid1(VALU_DEP_1)
	v_mul_lo_u32 v1, v7, s5
	v_sub_nc_u32_e32 v0, v0, v1
	s_delay_alu instid0(VALU_DEP_1)
	v_mul_lo_u32 v1, v0, s20
	s_cbranch_vccnz .LBB9_7
; %bb.47:                               ;   in Loop: Header=BB9_9 Depth=1
	v_mul_hi_u32 v0, s9, v7
	s_delay_alu instid0(VALU_DEP_1) | instskip(NEXT) | instid1(VALU_DEP_1)
	v_add_nc_u32_e32 v0, v7, v0
	v_lshrrev_b32_e32 v0, s10, v0
	s_delay_alu instid0(VALU_DEP_1) | instskip(NEXT) | instid1(VALU_DEP_1)
	v_mul_lo_u32 v0, v0, s8
	v_sub_nc_u32_e32 v0, v7, v0
	s_delay_alu instid0(VALU_DEP_1) | instskip(NEXT) | instid1(VALU_DEP_1)
	v_mad_u64_u32 v[7:8], null, v0, s21, v[1:2]
	v_mov_b32_e32 v1, v7
	s_branch .LBB9_7
.LBB9_48:
	s_endpgm
.LBB9_49:
                                        ; implicit-def: $sgpr2_sgpr3
	s_branch .LBB9_4
	.section	.rodata,"a",@progbits
	.p2align	6, 0x0
	.amdhsa_kernel _ZN2at6native12_GLOBAL__N_143distribution_elementwise_grid_stride_kernelIfLi4EZNS0_9templates4cuda21uniform_and_transformIN3c104HalfEfPNS_17CUDAGeneratorImplEZZZNS4_14uniform_kernelIS9_EEvRNS_18TensorIteratorBaseEddT_ENKUlvE_clEvENKUlvE1_clEvEUlfE_EEvSC_T1_T2_EUlP25hiprandStatePhilox4_32_10E_ZNS1_27distribution_nullary_kernelIS7_f15HIP_vector_typeIdLj2EES9_SL_SG_EEvSC_SI_RKT3_T4_EUlifE0_EEvlNS_15PhiloxCudaStateESH_SI_
		.amdhsa_group_segment_fixed_size 0
		.amdhsa_private_segment_fixed_size 0
		.amdhsa_kernarg_size 584
		.amdhsa_user_sgpr_count 15
		.amdhsa_user_sgpr_dispatch_ptr 0
		.amdhsa_user_sgpr_queue_ptr 0
		.amdhsa_user_sgpr_kernarg_segment_ptr 1
		.amdhsa_user_sgpr_dispatch_id 0
		.amdhsa_user_sgpr_private_segment_size 0
		.amdhsa_wavefront_size32 1
		.amdhsa_uses_dynamic_stack 0
		.amdhsa_enable_private_segment 0
		.amdhsa_system_sgpr_workgroup_id_x 1
		.amdhsa_system_sgpr_workgroup_id_y 0
		.amdhsa_system_sgpr_workgroup_id_z 0
		.amdhsa_system_sgpr_workgroup_info 0
		.amdhsa_system_vgpr_workitem_id 0
		.amdhsa_next_free_vgpr 45
		.amdhsa_next_free_sgpr 56
		.amdhsa_reserve_vcc 1
		.amdhsa_float_round_mode_32 0
		.amdhsa_float_round_mode_16_64 0
		.amdhsa_float_denorm_mode_32 3
		.amdhsa_float_denorm_mode_16_64 3
		.amdhsa_dx10_clamp 1
		.amdhsa_ieee_mode 1
		.amdhsa_fp16_overflow 0
		.amdhsa_workgroup_processor_mode 1
		.amdhsa_memory_ordered 1
		.amdhsa_forward_progress 0
		.amdhsa_shared_vgpr_count 0
		.amdhsa_exception_fp_ieee_invalid_op 0
		.amdhsa_exception_fp_denorm_src 0
		.amdhsa_exception_fp_ieee_div_zero 0
		.amdhsa_exception_fp_ieee_overflow 0
		.amdhsa_exception_fp_ieee_underflow 0
		.amdhsa_exception_fp_ieee_inexact 0
		.amdhsa_exception_int_div_zero 0
	.end_amdhsa_kernel
	.section	.text._ZN2at6native12_GLOBAL__N_143distribution_elementwise_grid_stride_kernelIfLi4EZNS0_9templates4cuda21uniform_and_transformIN3c104HalfEfPNS_17CUDAGeneratorImplEZZZNS4_14uniform_kernelIS9_EEvRNS_18TensorIteratorBaseEddT_ENKUlvE_clEvENKUlvE1_clEvEUlfE_EEvSC_T1_T2_EUlP25hiprandStatePhilox4_32_10E_ZNS1_27distribution_nullary_kernelIS7_f15HIP_vector_typeIdLj2EES9_SL_SG_EEvSC_SI_RKT3_T4_EUlifE0_EEvlNS_15PhiloxCudaStateESH_SI_,"axG",@progbits,_ZN2at6native12_GLOBAL__N_143distribution_elementwise_grid_stride_kernelIfLi4EZNS0_9templates4cuda21uniform_and_transformIN3c104HalfEfPNS_17CUDAGeneratorImplEZZZNS4_14uniform_kernelIS9_EEvRNS_18TensorIteratorBaseEddT_ENKUlvE_clEvENKUlvE1_clEvEUlfE_EEvSC_T1_T2_EUlP25hiprandStatePhilox4_32_10E_ZNS1_27distribution_nullary_kernelIS7_f15HIP_vector_typeIdLj2EES9_SL_SG_EEvSC_SI_RKT3_T4_EUlifE0_EEvlNS_15PhiloxCudaStateESH_SI_,comdat
.Lfunc_end9:
	.size	_ZN2at6native12_GLOBAL__N_143distribution_elementwise_grid_stride_kernelIfLi4EZNS0_9templates4cuda21uniform_and_transformIN3c104HalfEfPNS_17CUDAGeneratorImplEZZZNS4_14uniform_kernelIS9_EEvRNS_18TensorIteratorBaseEddT_ENKUlvE_clEvENKUlvE1_clEvEUlfE_EEvSC_T1_T2_EUlP25hiprandStatePhilox4_32_10E_ZNS1_27distribution_nullary_kernelIS7_f15HIP_vector_typeIdLj2EES9_SL_SG_EEvSC_SI_RKT3_T4_EUlifE0_EEvlNS_15PhiloxCudaStateESH_SI_, .Lfunc_end9-_ZN2at6native12_GLOBAL__N_143distribution_elementwise_grid_stride_kernelIfLi4EZNS0_9templates4cuda21uniform_and_transformIN3c104HalfEfPNS_17CUDAGeneratorImplEZZZNS4_14uniform_kernelIS9_EEvRNS_18TensorIteratorBaseEddT_ENKUlvE_clEvENKUlvE1_clEvEUlfE_EEvSC_T1_T2_EUlP25hiprandStatePhilox4_32_10E_ZNS1_27distribution_nullary_kernelIS7_f15HIP_vector_typeIdLj2EES9_SL_SG_EEvSC_SI_RKT3_T4_EUlifE0_EEvlNS_15PhiloxCudaStateESH_SI_
                                        ; -- End function
	.section	.AMDGPU.csdata,"",@progbits
; Kernel info:
; codeLenInByte = 3984
; NumSgprs: 58
; NumVgprs: 45
; ScratchSize: 0
; MemoryBound: 0
; FloatMode: 240
; IeeeMode: 1
; LDSByteSize: 0 bytes/workgroup (compile time only)
; SGPRBlocks: 7
; VGPRBlocks: 5
; NumSGPRsForWavesPerEU: 58
; NumVGPRsForWavesPerEU: 45
; Occupancy: 16
; WaveLimiterHint : 1
; COMPUTE_PGM_RSRC2:SCRATCH_EN: 0
; COMPUTE_PGM_RSRC2:USER_SGPR: 15
; COMPUTE_PGM_RSRC2:TRAP_HANDLER: 0
; COMPUTE_PGM_RSRC2:TGID_X_EN: 1
; COMPUTE_PGM_RSRC2:TGID_Y_EN: 0
; COMPUTE_PGM_RSRC2:TGID_Z_EN: 0
; COMPUTE_PGM_RSRC2:TIDIG_COMP_CNT: 0
	.section	.text._ZN2at6native12_GLOBAL__N_143distribution_elementwise_grid_stride_kernelIfLi4EZNS0_9templates4cuda21uniform_and_transformIN3c104HalfEfPNS_17CUDAGeneratorImplEZZZNS4_14uniform_kernelIS9_EEvRNS_18TensorIteratorBaseEddT_ENKUlvE_clEvENKUlvE1_clEvEUlfE_EEvSC_T1_T2_EUlP25hiprandStatePhilox4_32_10E0_ZNS1_27distribution_nullary_kernelIS7_f15HIP_vector_typeIfLj4EES9_SL_SG_EEvSC_SI_RKT3_T4_EUlifE_EEvlNS_15PhiloxCudaStateESH_SI_,"axG",@progbits,_ZN2at6native12_GLOBAL__N_143distribution_elementwise_grid_stride_kernelIfLi4EZNS0_9templates4cuda21uniform_and_transformIN3c104HalfEfPNS_17CUDAGeneratorImplEZZZNS4_14uniform_kernelIS9_EEvRNS_18TensorIteratorBaseEddT_ENKUlvE_clEvENKUlvE1_clEvEUlfE_EEvSC_T1_T2_EUlP25hiprandStatePhilox4_32_10E0_ZNS1_27distribution_nullary_kernelIS7_f15HIP_vector_typeIfLj4EES9_SL_SG_EEvSC_SI_RKT3_T4_EUlifE_EEvlNS_15PhiloxCudaStateESH_SI_,comdat
	.globl	_ZN2at6native12_GLOBAL__N_143distribution_elementwise_grid_stride_kernelIfLi4EZNS0_9templates4cuda21uniform_and_transformIN3c104HalfEfPNS_17CUDAGeneratorImplEZZZNS4_14uniform_kernelIS9_EEvRNS_18TensorIteratorBaseEddT_ENKUlvE_clEvENKUlvE1_clEvEUlfE_EEvSC_T1_T2_EUlP25hiprandStatePhilox4_32_10E0_ZNS1_27distribution_nullary_kernelIS7_f15HIP_vector_typeIfLj4EES9_SL_SG_EEvSC_SI_RKT3_T4_EUlifE_EEvlNS_15PhiloxCudaStateESH_SI_ ; -- Begin function _ZN2at6native12_GLOBAL__N_143distribution_elementwise_grid_stride_kernelIfLi4EZNS0_9templates4cuda21uniform_and_transformIN3c104HalfEfPNS_17CUDAGeneratorImplEZZZNS4_14uniform_kernelIS9_EEvRNS_18TensorIteratorBaseEddT_ENKUlvE_clEvENKUlvE1_clEvEUlfE_EEvSC_T1_T2_EUlP25hiprandStatePhilox4_32_10E0_ZNS1_27distribution_nullary_kernelIS7_f15HIP_vector_typeIfLj4EES9_SL_SG_EEvSC_SI_RKT3_T4_EUlifE_EEvlNS_15PhiloxCudaStateESH_SI_
	.p2align	8
	.type	_ZN2at6native12_GLOBAL__N_143distribution_elementwise_grid_stride_kernelIfLi4EZNS0_9templates4cuda21uniform_and_transformIN3c104HalfEfPNS_17CUDAGeneratorImplEZZZNS4_14uniform_kernelIS9_EEvRNS_18TensorIteratorBaseEddT_ENKUlvE_clEvENKUlvE1_clEvEUlfE_EEvSC_T1_T2_EUlP25hiprandStatePhilox4_32_10E0_ZNS1_27distribution_nullary_kernelIS7_f15HIP_vector_typeIfLj4EES9_SL_SG_EEvSC_SI_RKT3_T4_EUlifE_EEvlNS_15PhiloxCudaStateESH_SI_,@function
_ZN2at6native12_GLOBAL__N_143distribution_elementwise_grid_stride_kernelIfLi4EZNS0_9templates4cuda21uniform_and_transformIN3c104HalfEfPNS_17CUDAGeneratorImplEZZZNS4_14uniform_kernelIS9_EEvRNS_18TensorIteratorBaseEddT_ENKUlvE_clEvENKUlvE1_clEvEUlfE_EEvSC_T1_T2_EUlP25hiprandStatePhilox4_32_10E0_ZNS1_27distribution_nullary_kernelIS7_f15HIP_vector_typeIfLj4EES9_SL_SG_EEvSC_SI_RKT3_T4_EUlifE_EEvlNS_15PhiloxCudaStateESH_SI_: ; @_ZN2at6native12_GLOBAL__N_143distribution_elementwise_grid_stride_kernelIfLi4EZNS0_9templates4cuda21uniform_and_transformIN3c104HalfEfPNS_17CUDAGeneratorImplEZZZNS4_14uniform_kernelIS9_EEvRNS_18TensorIteratorBaseEddT_ENKUlvE_clEvENKUlvE1_clEvEUlfE_EEvSC_T1_T2_EUlP25hiprandStatePhilox4_32_10E0_ZNS1_27distribution_nullary_kernelIS7_f15HIP_vector_typeIfLj4EES9_SL_SG_EEvSC_SI_RKT3_T4_EUlifE_EEvlNS_15PhiloxCudaStateESH_SI_
; %bb.0:
	s_clause 0x2
	s_load_b64 s[8:9], s[0:1], 0x10
	s_load_b128 s[4:7], s[0:1], 0x0
	s_load_b32 s2, s[0:1], 0x20
	s_waitcnt lgkmcnt(0)
	v_dual_mov_b32 v2, s8 :: v_dual_mov_b32 v3, s9
	v_dual_mov_b32 v12, s7 :: v_dual_mov_b32 v11, s6
	s_bitcmp0_b32 s2, 0
	s_mov_b32 s2, 0
	s_cbranch_scc1 .LBB10_2
; %bb.1:
	v_dual_mov_b32 v1, s8 :: v_dual_mov_b32 v2, s9
	v_dual_mov_b32 v4, s6 :: v_dual_mov_b32 v5, s7
	s_load_b64 s[6:7], s[0:1], 0x18
	flat_load_b64 v[2:3], v[1:2]
	flat_load_b64 v[11:12], v[4:5]
	s_waitcnt vmcnt(1) lgkmcnt(0)
	v_add_co_u32 v2, vcc_lo, v2, s6
	v_add_co_ci_u32_e32 v3, vcc_lo, s7, v3, vcc_lo
.LBB10_2:
	s_clause 0x1
	s_load_b32 s3, s[0:1], 0x54
	s_load_b32 s13, s[0:1], 0x48
	s_waitcnt lgkmcnt(0)
	s_and_b32 s12, s3, 0xffff
	s_add_u32 s8, s4, -1
	s_mul_i32 s6, s13, s12
	s_addc_u32 s3, s5, -1
	s_lshl_b32 s7, s6, 2
	s_cmp_lg_u64 s[2:3], 0
	s_cbranch_scc0 .LBB10_27
; %bb.3:
	v_cvt_f32_ubyte0_e32 v1, 0
	v_cvt_f32_u32_e32 v4, s7
	s_sub_u32 s10, 0, s7
	s_subb_u32 s11, 0, 0
	s_delay_alu instid0(VALU_DEP_1) | instskip(NEXT) | instid1(VALU_DEP_1)
	v_fmamk_f32 v1, v1, 0x4f800000, v4
	v_rcp_f32_e32 v1, v1
	s_waitcnt_depctr 0xfff
	v_mul_f32_e32 v1, 0x5f7ffffc, v1
	s_delay_alu instid0(VALU_DEP_1) | instskip(NEXT) | instid1(VALU_DEP_1)
	v_mul_f32_e32 v4, 0x2f800000, v1
	v_trunc_f32_e32 v4, v4
	s_delay_alu instid0(VALU_DEP_1) | instskip(SKIP_1) | instid1(VALU_DEP_2)
	v_fmamk_f32 v1, v4, 0xcf800000, v1
	v_cvt_u32_f32_e32 v4, v4
	v_cvt_u32_f32_e32 v1, v1
	s_delay_alu instid0(VALU_DEP_2) | instskip(NEXT) | instid1(VALU_DEP_2)
	v_readfirstlane_b32 s2, v4
	v_readfirstlane_b32 s9, v1
	s_delay_alu instid0(VALU_DEP_2) | instskip(NEXT) | instid1(VALU_DEP_1)
	s_mul_i32 s14, s10, s2
	s_mul_hi_u32 s17, s10, s9
	s_mul_i32 s16, s11, s9
	s_add_i32 s14, s17, s14
	s_mul_i32 s18, s10, s9
	s_add_i32 s14, s14, s16
	s_mul_hi_u32 s17, s9, s18
	s_mul_hi_u32 s19, s2, s18
	s_mul_i32 s16, s2, s18
	s_mul_hi_u32 s18, s9, s14
	s_mul_i32 s9, s9, s14
	s_mul_hi_u32 s20, s2, s14
	s_add_u32 s9, s17, s9
	s_addc_u32 s17, 0, s18
	s_add_u32 s9, s9, s16
	s_mul_i32 s14, s2, s14
	s_addc_u32 s9, s17, s19
	s_addc_u32 s16, s20, 0
	s_add_u32 s9, s9, s14
	s_addc_u32 s14, 0, s16
	v_add_co_u32 v1, s9, v1, s9
	s_delay_alu instid0(VALU_DEP_1) | instskip(SKIP_1) | instid1(VALU_DEP_1)
	s_cmp_lg_u32 s9, 0
	s_addc_u32 s2, s2, s14
	v_readfirstlane_b32 s9, v1
	s_mul_i32 s14, s10, s2
	s_delay_alu instid0(VALU_DEP_1)
	s_mul_hi_u32 s16, s10, s9
	s_mul_i32 s11, s11, s9
	s_add_i32 s14, s16, s14
	s_mul_i32 s10, s10, s9
	s_add_i32 s14, s14, s11
	s_mul_hi_u32 s16, s2, s10
	s_mul_i32 s17, s2, s10
	s_mul_hi_u32 s10, s9, s10
	s_mul_hi_u32 s18, s9, s14
	s_mul_i32 s9, s9, s14
	s_mul_hi_u32 s11, s2, s14
	s_add_u32 s9, s10, s9
	s_addc_u32 s10, 0, s18
	s_add_u32 s9, s9, s17
	s_mul_i32 s14, s2, s14
	s_addc_u32 s9, s10, s16
	s_addc_u32 s10, s11, 0
	s_add_u32 s9, s9, s14
	s_addc_u32 s10, 0, s10
	v_add_co_u32 v1, s9, v1, s9
	s_delay_alu instid0(VALU_DEP_1) | instskip(SKIP_2) | instid1(VALU_DEP_1)
	s_cmp_lg_u32 s9, 0
	s_addc_u32 s9, s2, s10
	s_ashr_i32 s10, s3, 31
	v_readfirstlane_b32 s14, v1
	s_add_u32 s2, s8, s10
	s_mov_b32 s11, s10
	s_addc_u32 s3, s3, s10
	s_delay_alu instid0(SALU_CYCLE_1) | instskip(NEXT) | instid1(SALU_CYCLE_1)
	s_xor_b64 s[2:3], s[2:3], s[10:11]
	s_mul_i32 s17, s2, s9
	s_mul_hi_u32 s18, s2, s14
	s_mul_hi_u32 s16, s2, s9
	;; [unrolled: 1-line block ×3, first 2 shown]
	s_mul_i32 s14, s3, s14
	s_add_u32 s17, s18, s17
	s_addc_u32 s16, 0, s16
	s_mul_hi_u32 s19, s3, s9
	s_add_u32 s14, s17, s14
	s_mul_i32 s9, s3, s9
	s_addc_u32 s14, s16, s20
	s_addc_u32 s16, s19, 0
	s_add_u32 s9, s14, s9
	s_addc_u32 s14, 0, s16
	s_mul_i32 s17, s7, s9
	s_add_u32 s16, s9, 1
	v_sub_co_u32 v1, s2, s2, s17
	s_mul_hi_u32 s17, s7, s9
	s_addc_u32 s18, s14, 0
	s_mul_i32 s19, s7, s14
	s_delay_alu instid0(VALU_DEP_1)
	v_sub_co_u32 v4, s20, v1, s7
	s_add_u32 s21, s9, 2
	s_addc_u32 s22, s14, 0
	s_add_i32 s17, s17, s19
	s_cmp_lg_u32 s2, 0
	v_readfirstlane_b32 s2, v4
	s_subb_u32 s3, s3, s17
	s_cmp_lg_u32 s20, 0
	s_subb_u32 s17, s3, 0
	s_delay_alu instid0(VALU_DEP_1) | instskip(SKIP_4) | instid1(SALU_CYCLE_1)
	s_cmp_ge_u32 s2, s7
	s_cselect_b32 s2, -1, 0
	s_cmp_eq_u32 s17, 0
	v_readfirstlane_b32 s17, v1
	s_cselect_b32 s2, s2, -1
	s_cmp_lg_u32 s2, 0
	s_cselect_b32 s2, s21, s16
	s_cselect_b32 s16, s22, s18
	s_cmp_ge_u32 s17, s7
	s_cselect_b32 s17, -1, 0
	s_cmp_eq_u32 s3, 0
	s_cselect_b32 s3, s17, -1
	s_delay_alu instid0(SALU_CYCLE_1) | instskip(SKIP_2) | instid1(SALU_CYCLE_1)
	s_cmp_lg_u32 s3, 0
	s_cselect_b32 s3, s16, s14
	s_cselect_b32 s2, s2, s9
	s_xor_b64 s[2:3], s[2:3], s[10:11]
	s_delay_alu instid0(SALU_CYCLE_1)
	s_sub_u32 s2, s2, s10
	s_subb_u32 s3, s3, s10
	s_cbranch_execnz .LBB10_5
.LBB10_4:
	v_cvt_f32_u32_e32 v1, s7
	s_sub_i32 s3, 0, s7
	s_delay_alu instid0(VALU_DEP_1) | instskip(SKIP_2) | instid1(VALU_DEP_1)
	v_rcp_iflag_f32_e32 v1, v1
	s_waitcnt_depctr 0xfff
	v_mul_f32_e32 v1, 0x4f7ffffe, v1
	v_cvt_u32_f32_e32 v1, v1
	s_delay_alu instid0(VALU_DEP_1) | instskip(NEXT) | instid1(VALU_DEP_1)
	v_readfirstlane_b32 s2, v1
	s_mul_i32 s3, s3, s2
	s_delay_alu instid0(SALU_CYCLE_1) | instskip(NEXT) | instid1(SALU_CYCLE_1)
	s_mul_hi_u32 s3, s2, s3
	s_add_i32 s2, s2, s3
	s_delay_alu instid0(SALU_CYCLE_1) | instskip(NEXT) | instid1(SALU_CYCLE_1)
	s_mul_hi_u32 s2, s8, s2
	s_mul_i32 s3, s2, s7
	s_delay_alu instid0(SALU_CYCLE_1)
	s_sub_i32 s3, s8, s3
	s_add_i32 s8, s2, 1
	s_sub_i32 s9, s3, s7
	s_cmp_ge_u32 s3, s7
	s_cselect_b32 s2, s8, s2
	s_cselect_b32 s3, s9, s3
	s_add_i32 s8, s2, 1
	s_cmp_ge_u32 s3, s7
	s_mov_b32 s3, 0
	s_cselect_b32 s2, s8, s2
.LBB10_5:
	v_mov_b32_e32 v1, 0
	s_add_u32 s2, s2, 1
	s_addc_u32 s3, s3, 0
	s_mul_hi_u32 s8, s6, s2
	s_mul_i32 s3, s6, s3
	v_mad_u64_u32 v[13:14], null, s12, s15, v[0:1]
	s_mul_hi_u32 s9, s13, s12
	s_add_i32 s3, s8, s3
	s_mul_i32 s9, s9, s2
	s_mul_i32 s2, s6, s2
	s_add_i32 s3, s3, s9
	s_mov_b32 s8, exec_lo
	s_lshl_b64 s[2:3], s[2:3], 2
	s_delay_alu instid0(SALU_CYCLE_1)
	v_cmpx_gt_i64_e64 s[2:3], v[13:14]
	s_cbranch_execz .LBB10_26
; %bb.6:
	v_alignbit_b32 v17, v3, v2, 2
	v_mad_u64_u32 v[6:7], null, 0xcd9e8d57, v13, 0
	v_lshrrev_b32_e32 v18, 2, v3
	s_waitcnt vmcnt(0)
	v_dual_mov_b32 v38, v12 :: v_dual_and_b32 v27, 3, v2
	v_mad_u64_u32 v[4:5], null, 0xd2511f53, v17, 0
	v_add_co_u32 v20, null, 0x9e3779b9, v11
	v_xor3_b32 v3, v11, v7, v18
	s_delay_alu instid0(VALU_DEP_4) | instskip(SKIP_2) | instid1(VALU_DEP_4)
	v_add_co_u32 v19, null, 0xbb67ae85, v38
	v_add_co_u32 v21, null, 0x3c6ef372, v11
	v_xor_b32_e32 v1, v5, v12
	v_mad_u64_u32 v[7:8], null, 0xd2511f53, v3, 0
	v_add_co_u32 v22, null, 0x76cf5d0a, v38
	s_delay_alu instid0(VALU_DEP_3) | instskip(SKIP_2) | instid1(VALU_DEP_3)
	v_xor_b32_e32 v1, v1, v14
	v_add_co_u32 v23, null, 0x32370b8f, v38
	v_add_co_u32 v24, null, 0xdaa66d2b, v11
	v_mad_u64_u32 v[9:10], null, 0xcd9e8d57, v1, 0
	v_xor3_b32 v1, v19, v8, v4
	v_add_co_u32 v25, null, 0x78dde6e4, v11
	v_add_co_u32 v26, null, 0xed9eba14, v38
	s_delay_alu instid0(VALU_DEP_3) | instskip(SKIP_3) | instid1(VALU_DEP_3)
	v_mad_u64_u32 v[3:4], null, 0xcd9e8d57, v1, 0
	v_xor3_b32 v8, v20, v10, v6
	v_add_co_u32 v31, null, 0xa9066899, v38
	v_add_co_u32 v30, null, 0x1715609d, v11
	v_mad_u64_u32 v[5:6], null, 0xd2511f53, v8, 0
	v_xor3_b32 v1, v21, v4, v9
	v_add_co_u32 v33, null, 0xb54cda56, v11
	v_add_co_u32 v35, null, 0x646e171e, v38
	;; [unrolled: 1-line block ×3, first 2 shown]
	v_xor3_b32 v4, v22, v6, v7
	v_mad_u64_u32 v[6:7], null, 0xd2511f53, v1, 0
	v_add_co_u32 v32, null, 0x5384540f, v11
	s_delay_alu instid0(VALU_DEP_3) | instskip(SKIP_4) | instid1(VALU_DEP_3)
	v_mad_u64_u32 v[8:9], null, 0xcd9e8d57, v4, 0
	s_add_i32 s18, s15, s13
	s_clause 0x1
	s_load_b128 s[8:11], s[0:1], 0x30
	s_load_b32 s0, s[0:1], 0x40
	v_xor3_b32 v1, v23, v7, v5
	v_add_co_u32 v34, null, 0xf1bbcdc8, v11
	v_add_co_u32 v38, null, 0xdb3d7428, v38
	v_xor3_b32 v5, v24, v9, v3
	s_delay_alu instid0(VALU_DEP_4) | instskip(SKIP_2) | instid1(VALU_DEP_2)
	v_mad_u64_u32 v[3:4], null, 0xcd9e8d57, v1, 0
	s_mul_i32 s16, s13, 3
	s_lshl_b32 s17, s13, 1
	v_mad_u64_u32 v[9:10], null, 0xd2511f53, v5, 0
	s_add_i32 s16, s15, s16
	v_dual_mov_b32 v37, v13 :: v_dual_add_nc_u32 v28, 0x8ff34781, v11
	s_delay_alu instid0(VALU_DEP_3) | instskip(SKIP_2) | instid1(VALU_DEP_4)
	v_xor3_b32 v4, v25, v4, v8
	v_add_nc_u32_e32 v29, 0x96a522ad, v12
	s_mov_b32 s1, 0
	v_xor3_b32 v6, v26, v10, v6
	s_waitcnt lgkmcnt(0)
	s_mul_i32 s13, s13, s10
	v_mad_u64_u32 v[1:2], null, 0xd2511f53, v4, 0
	v_cvt_f32_f16_e32 v39, s0
	v_mad_u64_u32 v[4:5], null, 0xcd9e8d57, v6, 0
	s_mul_i32 s13, s13, s12
	s_lshl_b32 s14, s6, 1
	s_delay_alu instid0(VALU_DEP_3) | instskip(NEXT) | instid1(VALU_DEP_2)
	v_xor3_b32 v6, v31, v2, v9
	v_xor3_b32 v7, v30, v5, v3
	s_delay_alu instid0(VALU_DEP_2) | instskip(NEXT) | instid1(VALU_DEP_2)
	v_mad_u64_u32 v[2:3], null, 0xcd9e8d57, v6, 0
	v_mad_u64_u32 v[5:6], null, 0xd2511f53, v7, 0
	v_mad_u64_u32 v[7:8], null, s15, s12, v[0:1]
	s_add_i32 s15, s15, s17
	s_delay_alu instid0(VALU_DEP_3) | instskip(NEXT) | instid1(VALU_DEP_3)
	v_xor3_b32 v8, v33, v3, v4
	v_xor3_b32 v1, v35, v6, v1
	s_delay_alu instid0(VALU_DEP_2) | instskip(NEXT) | instid1(VALU_DEP_4)
	v_mad_u64_u32 v[3:4], null, 0xd2511f53, v8, 0
	v_mul_lo_u32 v40, s10, v7
	s_delay_alu instid0(VALU_DEP_3) | instskip(NEXT) | instid1(VALU_DEP_3)
	v_mad_u64_u32 v[8:9], null, 0xcd9e8d57, v1, 0
	v_xor3_b32 v1, v36, v4, v5
	s_delay_alu instid0(VALU_DEP_2) | instskip(NEXT) | instid1(VALU_DEP_2)
	v_xor3_b32 v2, v32, v9, v2
	v_mad_u64_u32 v[4:5], null, s18, s12, v[0:1]
	v_mad_u64_u32 v[5:6], null, 0xcd9e8d57, v1, 0
	s_delay_alu instid0(VALU_DEP_3) | instskip(SKIP_2) | instid1(VALU_DEP_4)
	v_mad_u64_u32 v[9:10], null, 0xd2511f53, v2, 0
	v_mad_u64_u32 v[15:16], null, s16, s12, v[0:1]
	;; [unrolled: 1-line block ×3, first 2 shown]
	v_xor3_b32 v0, v34, v6, v8
	v_mul_lo_u32 v43, s10, v4
	v_xor3_b32 v3, v38, v10, v3
	s_lshr_b32 s15, s0, 16
	v_mul_lo_u32 v41, s10, v15
	v_mad_u64_u32 v[44:45], null, 0xd2511f53, v0, 0
	s_delay_alu instid0(VALU_DEP_3) | instskip(SKIP_4) | instid1(VALU_DEP_3)
	v_mad_u64_u32 v[1:2], null, 0xcd9e8d57, v3, 0
	v_mul_lo_u32 v42, s10, v42
	s_mul_i32 s10, s6, 3
	s_lshl_b32 s12, s13, 2
	s_mov_b32 s13, 0
	v_dual_mov_b32 v3, v44 :: v_dual_mov_b32 v44, v14
	s_delay_alu instid0(VALU_DEP_3)
	v_xor3_b32 v0, v2, v5, v28
	v_xor3_b32 v2, v45, v9, v29
	s_branch .LBB10_8
.LBB10_7:                               ;   in Loop: Header=BB10_8 Depth=1
	s_or_b32 exec_lo, exec_lo, s16
	v_add_co_u32 v13, vcc_lo, v13, s7
	v_add_co_ci_u32_e32 v14, vcc_lo, 0, v14, vcc_lo
	v_mov_b32_e32 v7, v15
	v_dual_mov_b32 v0, v4 :: v_dual_mov_b32 v1, v5
	s_delay_alu instid0(VALU_DEP_3) | instskip(NEXT) | instid1(VALU_DEP_3)
	v_cmp_le_i64_e32 vcc_lo, s[2:3], v[13:14]
	v_dual_mov_b32 v2, v6 :: v_dual_mov_b32 v3, v7
	s_add_i32 s13, s13, s12
	s_waitcnt_vscnt null, 0x0
	s_barrier
	s_or_b32 s1, vcc_lo, s1
	buffer_gl0_inv
	s_and_not1_b32 exec_lo, exec_lo, s1
	s_cbranch_execz .LBB10_26
.LBB10_8:                               ; =>This Inner Loop Header: Depth=1
	v_add_co_u32 v17, vcc_lo, v17, 1
	s_delay_alu instid0(VALU_DEP_1) | instskip(SKIP_2) | instid1(VALU_DEP_1)
	v_cndmask_b32_e64 v4, 0, 1, vcc_lo
	v_add_co_ci_u32_e32 v18, vcc_lo, 0, v18, vcc_lo
	s_mov_b32 s16, exec_lo
	v_cmp_eq_u32_e32 vcc_lo, 0, v18
	s_delay_alu instid0(VALU_DEP_3) | instskip(NEXT) | instid1(VALU_DEP_1)
	v_cndmask_b32_e32 v4, 0, v4, vcc_lo
	v_add_nc_u32_e32 v37, v4, v37
	s_delay_alu instid0(VALU_DEP_1) | instskip(SKIP_2) | instid1(VALU_DEP_2)
	v_cmp_eq_u32_e32 vcc_lo, 0, v37
	v_cndmask_b32_e32 v4, 0, v4, vcc_lo
	v_mad_u64_u32 v[6:7], null, 0xcd9e8d57, v37, 0
	v_add_nc_u32_e32 v44, v4, v44
	v_mad_u64_u32 v[4:5], null, 0xd2511f53, v17, 0
	s_delay_alu instid0(VALU_DEP_3) | instskip(NEXT) | instid1(VALU_DEP_2)
	v_xor3_b32 v9, v7, v11, v18
	v_xor_b32_e32 v5, v5, v12
	s_delay_alu instid0(VALU_DEP_2) | instskip(NEXT) | instid1(VALU_DEP_2)
	v_mad_u64_u32 v[7:8], null, 0xd2511f53, v9, 0
	v_xor_b32_e32 v5, v44, v5
	s_delay_alu instid0(VALU_DEP_2) | instskip(NEXT) | instid1(VALU_DEP_2)
	v_xor3_b32 v8, v19, v8, v4
	v_mad_u64_u32 v[9:10], null, 0xcd9e8d57, v5, 0
	s_delay_alu instid0(VALU_DEP_2) | instskip(NEXT) | instid1(VALU_DEP_2)
	v_mad_u64_u32 v[4:5], null, 0xcd9e8d57, v8, 0
	v_xor3_b32 v6, v20, v10, v6
	s_delay_alu instid0(VALU_DEP_2) | instskip(NEXT) | instid1(VALU_DEP_2)
	v_xor3_b32 v8, v21, v5, v9
	v_mad_u64_u32 v[15:16], null, 0xd2511f53, v6, 0
	s_delay_alu instid0(VALU_DEP_2) | instskip(NEXT) | instid1(VALU_DEP_2)
	v_mad_u64_u32 v[5:6], null, 0xd2511f53, v8, 0
	v_xor3_b32 v9, v22, v16, v7
	s_delay_alu instid0(VALU_DEP_2) | instskip(NEXT) | instid1(VALU_DEP_2)
	v_xor3_b32 v6, v23, v6, v15
	v_mad_u64_u32 v[7:8], null, 0xcd9e8d57, v9, 0
	s_delay_alu instid0(VALU_DEP_1) | instskip(NEXT) | instid1(VALU_DEP_3)
	v_xor3_b32 v4, v24, v8, v4
	v_mad_u64_u32 v[8:9], null, 0xcd9e8d57, v6, 0
	s_delay_alu instid0(VALU_DEP_2) | instskip(NEXT) | instid1(VALU_DEP_2)
	v_mad_u64_u32 v[15:16], null, 0xd2511f53, v4, 0
	v_xor3_b32 v6, v25, v9, v7
	s_delay_alu instid0(VALU_DEP_2) | instskip(NEXT) | instid1(VALU_DEP_2)
	v_xor3_b32 v9, v26, v16, v5
	v_mad_u64_u32 v[4:5], null, 0xd2511f53, v6, 0
	s_delay_alu instid0(VALU_DEP_2) | instskip(NEXT) | instid1(VALU_DEP_2)
	v_mad_u64_u32 v[6:7], null, 0xcd9e8d57, v9, 0
	v_xor3_b32 v5, v31, v5, v15
	s_delay_alu instid0(VALU_DEP_2) | instskip(NEXT) | instid1(VALU_DEP_2)
	;; [unrolled: 6-line block ×6, first 2 shown]
	v_xor3_b32 v4, v6, v7, v28
	v_mov_b32_e32 v6, v10
	v_cmpx_lt_i32_e32 1, v27
	s_xor_b32 s16, exec_lo, s16
	s_cbranch_execnz .LBB10_18
; %bb.9:                                ;   in Loop: Header=BB10_8 Depth=1
	s_and_not1_saveexec_b32 s16, s16
	s_cbranch_execnz .LBB10_23
.LBB10_10:                              ;   in Loop: Header=BB10_8 Depth=1
	s_or_b32 exec_lo, exec_lo, s16
	s_delay_alu instid0(SALU_CYCLE_1)
	s_mov_b32 s16, exec_lo
	v_cmpx_gt_i64_e64 s[4:5], v[13:14]
	s_cbranch_execz .LBB10_12
.LBB10_11:                              ;   in Loop: Header=BB10_8 Depth=1
	v_cvt_f32_u32_e32 v0, v0
	v_add_nc_u32_e32 v7, s13, v40
	s_delay_alu instid0(VALU_DEP_2) | instskip(NEXT) | instid1(VALU_DEP_2)
	v_fmaak_f32 v0, 0x2f800000, v0, 0x2f800000
	v_ashrrev_i32_e32 v8, 31, v7
	v_add_co_u32 v7, vcc_lo, s8, v7
	s_delay_alu instid0(VALU_DEP_3) | instskip(NEXT) | instid1(VALU_DEP_3)
	v_fma_mixlo_f16 v0, s11, v0, v39
	v_add_co_ci_u32_e32 v8, vcc_lo, s9, v8, vcc_lo
	s_delay_alu instid0(VALU_DEP_2)
	v_cmp_eq_f16_e32 vcc_lo, s15, v0
	v_cndmask_b32_e64 v0, v0, s0, vcc_lo
	global_store_b16 v[7:8], v0, off
.LBB10_12:                              ;   in Loop: Header=BB10_8 Depth=1
	s_or_b32 exec_lo, exec_lo, s16
	v_add_co_u32 v7, vcc_lo, s6, v13
	v_add_co_ci_u32_e32 v8, vcc_lo, 0, v14, vcc_lo
	s_mov_b32 s16, exec_lo
	s_delay_alu instid0(VALU_DEP_1)
	v_cmpx_gt_i64_e64 s[4:5], v[7:8]
	s_cbranch_execz .LBB10_14
; %bb.13:                               ;   in Loop: Header=BB10_8 Depth=1
	v_cvt_f32_u32_e32 v0, v1
	s_delay_alu instid0(VALU_DEP_1) | instskip(NEXT) | instid1(VALU_DEP_1)
	v_dual_fmaak_f32 v0, 0x2f800000, v0, 0x2f800000 :: v_dual_add_nc_u32 v1, s13, v43
	v_ashrrev_i32_e32 v7, 31, v1
	s_delay_alu instid0(VALU_DEP_2) | instskip(SKIP_1) | instid1(VALU_DEP_3)
	v_fma_mixlo_f16 v8, s11, v0, v39
	v_add_co_u32 v0, vcc_lo, s8, v1
	v_add_co_ci_u32_e32 v1, vcc_lo, s9, v7, vcc_lo
	s_delay_alu instid0(VALU_DEP_3)
	v_cmp_eq_f16_e32 vcc_lo, s15, v8
	v_cndmask_b32_e64 v7, v8, s0, vcc_lo
	global_store_b16 v[0:1], v7, off
.LBB10_14:                              ;   in Loop: Header=BB10_8 Depth=1
	s_or_b32 exec_lo, exec_lo, s16
	v_add_co_u32 v0, vcc_lo, s14, v13
	v_add_co_ci_u32_e32 v1, vcc_lo, 0, v14, vcc_lo
	s_mov_b32 s16, exec_lo
	s_delay_alu instid0(VALU_DEP_1)
	v_cmpx_gt_i64_e64 s[4:5], v[0:1]
	s_cbranch_execz .LBB10_16
; %bb.15:                               ;   in Loop: Header=BB10_8 Depth=1
	v_cvt_f32_u32_e32 v0, v2
	s_delay_alu instid0(VALU_DEP_1) | instskip(NEXT) | instid1(VALU_DEP_1)
	v_dual_fmaak_f32 v0, 0x2f800000, v0, 0x2f800000 :: v_dual_add_nc_u32 v1, s13, v42
	v_ashrrev_i32_e32 v2, 31, v1
	s_delay_alu instid0(VALU_DEP_2) | instskip(SKIP_1) | instid1(VALU_DEP_3)
	v_fma_mixlo_f16 v7, s11, v0, v39
	v_add_co_u32 v0, vcc_lo, s8, v1
	v_add_co_ci_u32_e32 v1, vcc_lo, s9, v2, vcc_lo
	s_delay_alu instid0(VALU_DEP_3)
	v_cmp_eq_f16_e32 vcc_lo, s15, v7
	v_cndmask_b32_e64 v2, v7, s0, vcc_lo
	global_store_b16 v[0:1], v2, off
.LBB10_16:                              ;   in Loop: Header=BB10_8 Depth=1
	s_or_b32 exec_lo, exec_lo, s16
	v_add_co_u32 v0, vcc_lo, s10, v13
	v_add_co_ci_u32_e32 v1, vcc_lo, 0, v14, vcc_lo
	s_mov_b32 s16, exec_lo
	s_delay_alu instid0(VALU_DEP_1)
	v_cmpx_gt_i64_e64 s[4:5], v[0:1]
	s_cbranch_execz .LBB10_7
; %bb.17:                               ;   in Loop: Header=BB10_8 Depth=1
	v_cvt_f32_u32_e32 v0, v3
	s_delay_alu instid0(VALU_DEP_1) | instskip(NEXT) | instid1(VALU_DEP_1)
	v_dual_fmaak_f32 v0, 0x2f800000, v0, 0x2f800000 :: v_dual_add_nc_u32 v1, s13, v41
	v_ashrrev_i32_e32 v2, 31, v1
	s_delay_alu instid0(VALU_DEP_2) | instskip(SKIP_1) | instid1(VALU_DEP_3)
	v_fma_mixlo_f16 v3, s11, v0, v39
	v_add_co_u32 v0, vcc_lo, s8, v1
	v_add_co_ci_u32_e32 v1, vcc_lo, s9, v2, vcc_lo
	s_delay_alu instid0(VALU_DEP_3)
	v_cmp_eq_f16_e32 vcc_lo, s15, v3
	v_cndmask_b32_e64 v2, v3, s0, vcc_lo
	global_store_b16 v[0:1], v2, off
	s_branch .LBB10_7
.LBB10_18:                              ;   in Loop: Header=BB10_8 Depth=1
	s_mov_b32 s17, exec_lo
	v_cmpx_lt_i32_e32 2, v27
	s_xor_b32 s17, exec_lo, s17
; %bb.19:                               ;   in Loop: Header=BB10_8 Depth=1
	v_dual_mov_b32 v7, v3 :: v_dual_mov_b32 v8, v4
	v_mov_b32_e32 v9, v5
	s_delay_alu instid0(VALU_DEP_2) | instskip(NEXT) | instid1(VALU_DEP_2)
	v_dual_mov_b32 v0, v7 :: v_dual_mov_b32 v1, v8
	v_dual_mov_b32 v2, v9 :: v_dual_mov_b32 v3, v10
; %bb.20:                               ;   in Loop: Header=BB10_8 Depth=1
	s_and_not1_saveexec_b32 s17, s17
; %bb.21:                               ;   in Loop: Header=BB10_8 Depth=1
	s_delay_alu instid0(VALU_DEP_1)
	v_dual_mov_b32 v0, v2 :: v_dual_mov_b32 v1, v3
	v_dual_mov_b32 v2, v4 :: v_dual_mov_b32 v3, v5
; %bb.22:                               ;   in Loop: Header=BB10_8 Depth=1
	s_or_b32 exec_lo, exec_lo, s17
	s_and_not1_saveexec_b32 s16, s16
	s_cbranch_execz .LBB10_10
.LBB10_23:                              ;   in Loop: Header=BB10_8 Depth=1
	s_mov_b32 s17, exec_lo
	v_cmpx_eq_u32_e32 1, v27
; %bb.24:                               ;   in Loop: Header=BB10_8 Depth=1
	v_dual_mov_b32 v0, v1 :: v_dual_mov_b32 v1, v2
	v_dual_mov_b32 v2, v3 :: v_dual_mov_b32 v3, v4
; %bb.25:                               ;   in Loop: Header=BB10_8 Depth=1
	s_or_b32 exec_lo, exec_lo, s17
	s_delay_alu instid0(SALU_CYCLE_1) | instskip(NEXT) | instid1(SALU_CYCLE_1)
	s_or_b32 exec_lo, exec_lo, s16
	s_mov_b32 s16, exec_lo
	v_cmpx_gt_i64_e64 s[4:5], v[13:14]
	s_cbranch_execnz .LBB10_11
	s_branch .LBB10_12
.LBB10_26:
	s_endpgm
.LBB10_27:
                                        ; implicit-def: $sgpr2_sgpr3
	s_branch .LBB10_4
	.section	.rodata,"a",@progbits
	.p2align	6, 0x0
	.amdhsa_kernel _ZN2at6native12_GLOBAL__N_143distribution_elementwise_grid_stride_kernelIfLi4EZNS0_9templates4cuda21uniform_and_transformIN3c104HalfEfPNS_17CUDAGeneratorImplEZZZNS4_14uniform_kernelIS9_EEvRNS_18TensorIteratorBaseEddT_ENKUlvE_clEvENKUlvE1_clEvEUlfE_EEvSC_T1_T2_EUlP25hiprandStatePhilox4_32_10E0_ZNS1_27distribution_nullary_kernelIS7_f15HIP_vector_typeIfLj4EES9_SL_SG_EEvSC_SI_RKT3_T4_EUlifE_EEvlNS_15PhiloxCudaStateESH_SI_
		.amdhsa_group_segment_fixed_size 0
		.amdhsa_private_segment_fixed_size 0
		.amdhsa_kernarg_size 328
		.amdhsa_user_sgpr_count 15
		.amdhsa_user_sgpr_dispatch_ptr 0
		.amdhsa_user_sgpr_queue_ptr 0
		.amdhsa_user_sgpr_kernarg_segment_ptr 1
		.amdhsa_user_sgpr_dispatch_id 0
		.amdhsa_user_sgpr_private_segment_size 0
		.amdhsa_wavefront_size32 1
		.amdhsa_uses_dynamic_stack 0
		.amdhsa_enable_private_segment 0
		.amdhsa_system_sgpr_workgroup_id_x 1
		.amdhsa_system_sgpr_workgroup_id_y 0
		.amdhsa_system_sgpr_workgroup_id_z 0
		.amdhsa_system_sgpr_workgroup_info 0
		.amdhsa_system_vgpr_workitem_id 0
		.amdhsa_next_free_vgpr 46
		.amdhsa_next_free_sgpr 23
		.amdhsa_reserve_vcc 1
		.amdhsa_float_round_mode_32 0
		.amdhsa_float_round_mode_16_64 0
		.amdhsa_float_denorm_mode_32 3
		.amdhsa_float_denorm_mode_16_64 3
		.amdhsa_dx10_clamp 1
		.amdhsa_ieee_mode 1
		.amdhsa_fp16_overflow 0
		.amdhsa_workgroup_processor_mode 1
		.amdhsa_memory_ordered 1
		.amdhsa_forward_progress 0
		.amdhsa_shared_vgpr_count 0
		.amdhsa_exception_fp_ieee_invalid_op 0
		.amdhsa_exception_fp_denorm_src 0
		.amdhsa_exception_fp_ieee_div_zero 0
		.amdhsa_exception_fp_ieee_overflow 0
		.amdhsa_exception_fp_ieee_underflow 0
		.amdhsa_exception_fp_ieee_inexact 0
		.amdhsa_exception_int_div_zero 0
	.end_amdhsa_kernel
	.section	.text._ZN2at6native12_GLOBAL__N_143distribution_elementwise_grid_stride_kernelIfLi4EZNS0_9templates4cuda21uniform_and_transformIN3c104HalfEfPNS_17CUDAGeneratorImplEZZZNS4_14uniform_kernelIS9_EEvRNS_18TensorIteratorBaseEddT_ENKUlvE_clEvENKUlvE1_clEvEUlfE_EEvSC_T1_T2_EUlP25hiprandStatePhilox4_32_10E0_ZNS1_27distribution_nullary_kernelIS7_f15HIP_vector_typeIfLj4EES9_SL_SG_EEvSC_SI_RKT3_T4_EUlifE_EEvlNS_15PhiloxCudaStateESH_SI_,"axG",@progbits,_ZN2at6native12_GLOBAL__N_143distribution_elementwise_grid_stride_kernelIfLi4EZNS0_9templates4cuda21uniform_and_transformIN3c104HalfEfPNS_17CUDAGeneratorImplEZZZNS4_14uniform_kernelIS9_EEvRNS_18TensorIteratorBaseEddT_ENKUlvE_clEvENKUlvE1_clEvEUlfE_EEvSC_T1_T2_EUlP25hiprandStatePhilox4_32_10E0_ZNS1_27distribution_nullary_kernelIS7_f15HIP_vector_typeIfLj4EES9_SL_SG_EEvSC_SI_RKT3_T4_EUlifE_EEvlNS_15PhiloxCudaStateESH_SI_,comdat
.Lfunc_end10:
	.size	_ZN2at6native12_GLOBAL__N_143distribution_elementwise_grid_stride_kernelIfLi4EZNS0_9templates4cuda21uniform_and_transformIN3c104HalfEfPNS_17CUDAGeneratorImplEZZZNS4_14uniform_kernelIS9_EEvRNS_18TensorIteratorBaseEddT_ENKUlvE_clEvENKUlvE1_clEvEUlfE_EEvSC_T1_T2_EUlP25hiprandStatePhilox4_32_10E0_ZNS1_27distribution_nullary_kernelIS7_f15HIP_vector_typeIfLj4EES9_SL_SG_EEvSC_SI_RKT3_T4_EUlifE_EEvlNS_15PhiloxCudaStateESH_SI_, .Lfunc_end10-_ZN2at6native12_GLOBAL__N_143distribution_elementwise_grid_stride_kernelIfLi4EZNS0_9templates4cuda21uniform_and_transformIN3c104HalfEfPNS_17CUDAGeneratorImplEZZZNS4_14uniform_kernelIS9_EEvRNS_18TensorIteratorBaseEddT_ENKUlvE_clEvENKUlvE1_clEvEUlfE_EEvSC_T1_T2_EUlP25hiprandStatePhilox4_32_10E0_ZNS1_27distribution_nullary_kernelIS7_f15HIP_vector_typeIfLj4EES9_SL_SG_EEvSC_SI_RKT3_T4_EUlifE_EEvlNS_15PhiloxCudaStateESH_SI_
                                        ; -- End function
	.section	.AMDGPU.csdata,"",@progbits
; Kernel info:
; codeLenInByte = 2964
; NumSgprs: 25
; NumVgprs: 46
; ScratchSize: 0
; MemoryBound: 0
; FloatMode: 240
; IeeeMode: 1
; LDSByteSize: 0 bytes/workgroup (compile time only)
; SGPRBlocks: 3
; VGPRBlocks: 5
; NumSGPRsForWavesPerEU: 25
; NumVGPRsForWavesPerEU: 46
; Occupancy: 16
; WaveLimiterHint : 0
; COMPUTE_PGM_RSRC2:SCRATCH_EN: 0
; COMPUTE_PGM_RSRC2:USER_SGPR: 15
; COMPUTE_PGM_RSRC2:TRAP_HANDLER: 0
; COMPUTE_PGM_RSRC2:TGID_X_EN: 1
; COMPUTE_PGM_RSRC2:TGID_Y_EN: 0
; COMPUTE_PGM_RSRC2:TGID_Z_EN: 0
; COMPUTE_PGM_RSRC2:TIDIG_COMP_CNT: 0
	.section	.text._ZN2at6native12_GLOBAL__N_143distribution_elementwise_grid_stride_kernelIfLi4EZNS0_9templates4cuda21uniform_and_transformIN3c104HalfEfPNS_17CUDAGeneratorImplEZZZNS4_14uniform_kernelIS9_EEvRNS_18TensorIteratorBaseEddT_ENKUlvE_clEvENKUlvE1_clEvEUlfE_EEvSC_T1_T2_EUlP25hiprandStatePhilox4_32_10E0_ZNS1_27distribution_nullary_kernelIS7_f15HIP_vector_typeIfLj4EES9_SL_SG_EEvSC_SI_RKT3_T4_EUlifE0_EEvlNS_15PhiloxCudaStateESH_SI_,"axG",@progbits,_ZN2at6native12_GLOBAL__N_143distribution_elementwise_grid_stride_kernelIfLi4EZNS0_9templates4cuda21uniform_and_transformIN3c104HalfEfPNS_17CUDAGeneratorImplEZZZNS4_14uniform_kernelIS9_EEvRNS_18TensorIteratorBaseEddT_ENKUlvE_clEvENKUlvE1_clEvEUlfE_EEvSC_T1_T2_EUlP25hiprandStatePhilox4_32_10E0_ZNS1_27distribution_nullary_kernelIS7_f15HIP_vector_typeIfLj4EES9_SL_SG_EEvSC_SI_RKT3_T4_EUlifE0_EEvlNS_15PhiloxCudaStateESH_SI_,comdat
	.globl	_ZN2at6native12_GLOBAL__N_143distribution_elementwise_grid_stride_kernelIfLi4EZNS0_9templates4cuda21uniform_and_transformIN3c104HalfEfPNS_17CUDAGeneratorImplEZZZNS4_14uniform_kernelIS9_EEvRNS_18TensorIteratorBaseEddT_ENKUlvE_clEvENKUlvE1_clEvEUlfE_EEvSC_T1_T2_EUlP25hiprandStatePhilox4_32_10E0_ZNS1_27distribution_nullary_kernelIS7_f15HIP_vector_typeIfLj4EES9_SL_SG_EEvSC_SI_RKT3_T4_EUlifE0_EEvlNS_15PhiloxCudaStateESH_SI_ ; -- Begin function _ZN2at6native12_GLOBAL__N_143distribution_elementwise_grid_stride_kernelIfLi4EZNS0_9templates4cuda21uniform_and_transformIN3c104HalfEfPNS_17CUDAGeneratorImplEZZZNS4_14uniform_kernelIS9_EEvRNS_18TensorIteratorBaseEddT_ENKUlvE_clEvENKUlvE1_clEvEUlfE_EEvSC_T1_T2_EUlP25hiprandStatePhilox4_32_10E0_ZNS1_27distribution_nullary_kernelIS7_f15HIP_vector_typeIfLj4EES9_SL_SG_EEvSC_SI_RKT3_T4_EUlifE0_EEvlNS_15PhiloxCudaStateESH_SI_
	.p2align	8
	.type	_ZN2at6native12_GLOBAL__N_143distribution_elementwise_grid_stride_kernelIfLi4EZNS0_9templates4cuda21uniform_and_transformIN3c104HalfEfPNS_17CUDAGeneratorImplEZZZNS4_14uniform_kernelIS9_EEvRNS_18TensorIteratorBaseEddT_ENKUlvE_clEvENKUlvE1_clEvEUlfE_EEvSC_T1_T2_EUlP25hiprandStatePhilox4_32_10E0_ZNS1_27distribution_nullary_kernelIS7_f15HIP_vector_typeIfLj4EES9_SL_SG_EEvSC_SI_RKT3_T4_EUlifE0_EEvlNS_15PhiloxCudaStateESH_SI_,@function
_ZN2at6native12_GLOBAL__N_143distribution_elementwise_grid_stride_kernelIfLi4EZNS0_9templates4cuda21uniform_and_transformIN3c104HalfEfPNS_17CUDAGeneratorImplEZZZNS4_14uniform_kernelIS9_EEvRNS_18TensorIteratorBaseEddT_ENKUlvE_clEvENKUlvE1_clEvEUlfE_EEvSC_T1_T2_EUlP25hiprandStatePhilox4_32_10E0_ZNS1_27distribution_nullary_kernelIS7_f15HIP_vector_typeIfLj4EES9_SL_SG_EEvSC_SI_RKT3_T4_EUlifE0_EEvlNS_15PhiloxCudaStateESH_SI_: ; @_ZN2at6native12_GLOBAL__N_143distribution_elementwise_grid_stride_kernelIfLi4EZNS0_9templates4cuda21uniform_and_transformIN3c104HalfEfPNS_17CUDAGeneratorImplEZZZNS4_14uniform_kernelIS9_EEvRNS_18TensorIteratorBaseEddT_ENKUlvE_clEvENKUlvE1_clEvEUlfE_EEvSC_T1_T2_EUlP25hiprandStatePhilox4_32_10E0_ZNS1_27distribution_nullary_kernelIS7_f15HIP_vector_typeIfLj4EES9_SL_SG_EEvSC_SI_RKT3_T4_EUlifE0_EEvlNS_15PhiloxCudaStateESH_SI_
; %bb.0:
	s_clause 0x2
	s_load_b64 s[4:5], s[0:1], 0x10
	s_load_b128 s[16:19], s[0:1], 0x0
	s_load_b32 s2, s[0:1], 0x20
	s_waitcnt lgkmcnt(0)
	v_dual_mov_b32 v2, s4 :: v_dual_mov_b32 v3, s5
	v_dual_mov_b32 v11, s18 :: v_dual_mov_b32 v12, s19
	s_bitcmp0_b32 s2, 0
	s_mov_b32 s2, 0
	s_cbranch_scc1 .LBB11_2
; %bb.1:
	v_dual_mov_b32 v1, s4 :: v_dual_mov_b32 v2, s5
	v_dual_mov_b32 v4, s18 :: v_dual_mov_b32 v5, s19
	s_load_b64 s[4:5], s[0:1], 0x18
	flat_load_b64 v[2:3], v[1:2]
	flat_load_b64 v[11:12], v[4:5]
	s_waitcnt vmcnt(1) lgkmcnt(0)
	v_add_co_u32 v2, vcc_lo, v2, s4
	v_add_co_ci_u32_e32 v3, vcc_lo, s5, v3, vcc_lo
.LBB11_2:
	s_clause 0x1
	s_load_b32 s3, s[0:1], 0x154
	s_load_b32 s4, s[0:1], 0x148
	s_waitcnt lgkmcnt(0)
	s_and_b32 s5, s3, 0xffff
	s_add_u32 s6, s16, -1
	s_mul_i32 s26, s4, s5
	s_addc_u32 s3, s17, -1
	s_lshl_b32 s27, s26, 2
	s_cmp_lg_u64 s[2:3], 0
	s_cbranch_scc0 .LBB11_79
; %bb.3:
	v_cvt_f32_ubyte0_e32 v1, 0
	v_cvt_f32_u32_e32 v4, s27
	s_sub_u32 s8, 0, s27
	s_subb_u32 s9, 0, 0
	s_delay_alu instid0(VALU_DEP_1) | instskip(NEXT) | instid1(VALU_DEP_1)
	v_fmamk_f32 v1, v1, 0x4f800000, v4
	v_rcp_f32_e32 v1, v1
	s_waitcnt_depctr 0xfff
	v_mul_f32_e32 v1, 0x5f7ffffc, v1
	s_delay_alu instid0(VALU_DEP_1) | instskip(NEXT) | instid1(VALU_DEP_1)
	v_mul_f32_e32 v4, 0x2f800000, v1
	v_trunc_f32_e32 v4, v4
	s_delay_alu instid0(VALU_DEP_1) | instskip(SKIP_1) | instid1(VALU_DEP_2)
	v_fmamk_f32 v1, v4, 0xcf800000, v1
	v_cvt_u32_f32_e32 v4, v4
	v_cvt_u32_f32_e32 v1, v1
	s_delay_alu instid0(VALU_DEP_2) | instskip(NEXT) | instid1(VALU_DEP_2)
	v_readfirstlane_b32 s2, v4
	v_readfirstlane_b32 s7, v1
	s_delay_alu instid0(VALU_DEP_2) | instskip(NEXT) | instid1(VALU_DEP_1)
	s_mul_i32 s10, s8, s2
	s_mul_hi_u32 s12, s8, s7
	s_mul_i32 s11, s9, s7
	s_add_i32 s10, s12, s10
	s_mul_i32 s13, s8, s7
	s_add_i32 s10, s10, s11
	s_mul_hi_u32 s12, s7, s13
	s_mul_hi_u32 s14, s2, s13
	s_mul_i32 s11, s2, s13
	s_mul_hi_u32 s13, s7, s10
	s_mul_i32 s7, s7, s10
	s_mul_hi_u32 s18, s2, s10
	s_add_u32 s7, s12, s7
	s_addc_u32 s12, 0, s13
	s_add_u32 s7, s7, s11
	s_mul_i32 s10, s2, s10
	s_addc_u32 s7, s12, s14
	s_addc_u32 s11, s18, 0
	s_add_u32 s7, s7, s10
	s_addc_u32 s10, 0, s11
	v_add_co_u32 v1, s7, v1, s7
	s_delay_alu instid0(VALU_DEP_1) | instskip(SKIP_1) | instid1(VALU_DEP_1)
	s_cmp_lg_u32 s7, 0
	s_addc_u32 s2, s2, s10
	v_readfirstlane_b32 s7, v1
	s_mul_i32 s10, s8, s2
	s_delay_alu instid0(VALU_DEP_1)
	s_mul_hi_u32 s11, s8, s7
	s_mul_i32 s9, s9, s7
	s_add_i32 s10, s11, s10
	s_mul_i32 s8, s8, s7
	s_add_i32 s10, s10, s9
	s_mul_hi_u32 s11, s2, s8
	s_mul_i32 s12, s2, s8
	s_mul_hi_u32 s8, s7, s8
	s_mul_hi_u32 s13, s7, s10
	s_mul_i32 s7, s7, s10
	s_mul_hi_u32 s9, s2, s10
	s_add_u32 s7, s8, s7
	s_addc_u32 s8, 0, s13
	s_add_u32 s7, s7, s12
	s_mul_i32 s10, s2, s10
	s_addc_u32 s7, s8, s11
	s_addc_u32 s8, s9, 0
	s_add_u32 s7, s7, s10
	s_addc_u32 s8, 0, s8
	v_add_co_u32 v1, s7, v1, s7
	s_delay_alu instid0(VALU_DEP_1) | instskip(SKIP_2) | instid1(VALU_DEP_1)
	s_cmp_lg_u32 s7, 0
	s_addc_u32 s7, s2, s8
	s_ashr_i32 s8, s3, 31
	v_readfirstlane_b32 s10, v1
	s_add_u32 s2, s6, s8
	s_mov_b32 s9, s8
	s_addc_u32 s3, s3, s8
	s_delay_alu instid0(SALU_CYCLE_1) | instskip(NEXT) | instid1(SALU_CYCLE_1)
	s_xor_b64 s[2:3], s[2:3], s[8:9]
	s_mul_i32 s12, s2, s7
	s_mul_hi_u32 s13, s2, s10
	s_mul_hi_u32 s11, s2, s7
	;; [unrolled: 1-line block ×3, first 2 shown]
	s_mul_i32 s10, s3, s10
	s_add_u32 s12, s13, s12
	s_addc_u32 s11, 0, s11
	s_mul_hi_u32 s14, s3, s7
	s_add_u32 s10, s12, s10
	s_mul_i32 s7, s3, s7
	s_addc_u32 s10, s11, s18
	s_addc_u32 s11, s14, 0
	s_add_u32 s7, s10, s7
	s_addc_u32 s10, 0, s11
	s_mul_i32 s12, s27, s7
	s_add_u32 s11, s7, 1
	v_sub_co_u32 v1, s2, s2, s12
	s_mul_hi_u32 s12, s27, s7
	s_addc_u32 s13, s10, 0
	s_mul_i32 s14, s27, s10
	s_delay_alu instid0(VALU_DEP_1)
	v_sub_co_u32 v4, s18, v1, s27
	s_add_u32 s19, s7, 2
	s_addc_u32 s20, s10, 0
	s_add_i32 s12, s12, s14
	s_cmp_lg_u32 s2, 0
	v_readfirstlane_b32 s2, v4
	s_subb_u32 s3, s3, s12
	s_cmp_lg_u32 s18, 0
	s_subb_u32 s12, s3, 0
	s_delay_alu instid0(VALU_DEP_1) | instskip(SKIP_4) | instid1(SALU_CYCLE_1)
	s_cmp_ge_u32 s2, s27
	s_cselect_b32 s2, -1, 0
	s_cmp_eq_u32 s12, 0
	v_readfirstlane_b32 s12, v1
	s_cselect_b32 s2, s2, -1
	s_cmp_lg_u32 s2, 0
	s_cselect_b32 s2, s19, s11
	s_cselect_b32 s11, s20, s13
	s_cmp_ge_u32 s12, s27
	s_cselect_b32 s12, -1, 0
	s_cmp_eq_u32 s3, 0
	s_cselect_b32 s3, s12, -1
	s_delay_alu instid0(SALU_CYCLE_1) | instskip(SKIP_2) | instid1(SALU_CYCLE_1)
	s_cmp_lg_u32 s3, 0
	s_cselect_b32 s3, s11, s10
	s_cselect_b32 s2, s2, s7
	s_xor_b64 s[2:3], s[2:3], s[8:9]
	s_delay_alu instid0(SALU_CYCLE_1)
	s_sub_u32 s2, s2, s8
	s_subb_u32 s3, s3, s8
	s_cbranch_execnz .LBB11_5
.LBB11_4:
	v_cvt_f32_u32_e32 v1, s27
	s_sub_i32 s3, 0, s27
	s_delay_alu instid0(VALU_DEP_1) | instskip(SKIP_2) | instid1(VALU_DEP_1)
	v_rcp_iflag_f32_e32 v1, v1
	s_waitcnt_depctr 0xfff
	v_mul_f32_e32 v1, 0x4f7ffffe, v1
	v_cvt_u32_f32_e32 v1, v1
	s_delay_alu instid0(VALU_DEP_1) | instskip(NEXT) | instid1(VALU_DEP_1)
	v_readfirstlane_b32 s2, v1
	s_mul_i32 s3, s3, s2
	s_delay_alu instid0(SALU_CYCLE_1) | instskip(NEXT) | instid1(SALU_CYCLE_1)
	s_mul_hi_u32 s3, s2, s3
	s_add_i32 s2, s2, s3
	s_delay_alu instid0(SALU_CYCLE_1) | instskip(NEXT) | instid1(SALU_CYCLE_1)
	s_mul_hi_u32 s2, s6, s2
	s_mul_i32 s3, s2, s27
	s_delay_alu instid0(SALU_CYCLE_1)
	s_sub_i32 s3, s6, s3
	s_add_i32 s6, s2, 1
	s_sub_i32 s7, s3, s27
	s_cmp_ge_u32 s3, s27
	s_cselect_b32 s2, s6, s2
	s_cselect_b32 s3, s7, s3
	s_add_i32 s6, s2, 1
	s_cmp_ge_u32 s3, s27
	s_mov_b32 s3, 0
	s_cselect_b32 s2, s6, s2
.LBB11_5:
	v_mov_b32_e32 v1, 0
	s_add_u32 s2, s2, 1
	s_addc_u32 s3, s3, 0
	s_mul_hi_u32 s6, s26, s2
	s_mul_i32 s3, s26, s3
	v_mad_u64_u32 v[13:14], null, s5, s15, v[0:1]
	s_mul_hi_u32 s4, s4, s5
	s_add_i32 s3, s6, s3
	s_mul_i32 s4, s4, s2
	s_mul_i32 s2, s26, s2
	s_add_i32 s3, s3, s4
	s_mov_b32 s4, exec_lo
	s_lshl_b64 s[2:3], s[2:3], 2
	s_delay_alu instid0(SALU_CYCLE_1)
	v_cmpx_gt_i64_e64 s[2:3], v[13:14]
	s_cbranch_execz .LBB11_78
; %bb.6:
	v_alignbit_b32 v17, v3, v2, 2
	v_mad_u64_u32 v[4:5], null, 0xcd9e8d57, v13, 0
	v_lshrrev_b32_e32 v18, 2, v3
	s_waitcnt vmcnt(0)
	v_dual_mov_b32 v9, v12 :: v_dual_add_nc_u32 v26, 0x8ff34781, v11
	v_mad_u64_u32 v[0:1], null, 0xd2511f53, v17, 0
	v_add_co_u32 v20, null, 0x9e3779b9, v11
	v_xor3_b32 v3, v11, v5, v18
	s_delay_alu instid0(VALU_DEP_4) | instskip(SKIP_2) | instid1(VALU_DEP_4)
	v_add_co_u32 v19, null, 0xbb67ae85, v9
	v_add_co_u32 v21, null, 0x3c6ef372, v11
	v_xor_b32_e32 v1, v1, v12
	v_mad_u64_u32 v[5:6], null, 0xd2511f53, v3, 0
	v_add_co_u32 v22, null, 0x76cf5d0a, v9
	s_delay_alu instid0(VALU_DEP_3) | instskip(SKIP_2) | instid1(VALU_DEP_3)
	v_xor_b32_e32 v1, v1, v14
	v_add_co_u32 v23, null, 0x32370b8f, v9
	v_add_co_u32 v24, null, 0xdaa66d2b, v11
	v_mad_u64_u32 v[7:8], null, 0xcd9e8d57, v1, 0
	v_xor3_b32 v3, v19, v6, v0
	v_dual_mov_b32 v40, v14 :: v_dual_and_b32 v25, 3, v2
	v_add_co_u32 v28, null, 0x78dde6e4, v11
	s_delay_alu instid0(VALU_DEP_3) | instskip(SKIP_3) | instid1(VALU_DEP_3)
	v_mad_u64_u32 v[0:1], null, 0xcd9e8d57, v3, 0
	v_xor3_b32 v6, v20, v8, v4
	v_add_co_u32 v29, null, 0xed9eba14, v9
	v_add_co_u32 v31, null, 0xa9066899, v9
	v_mad_u64_u32 v[3:4], null, 0xd2511f53, v6, 0
	v_xor3_b32 v1, v21, v1, v7
	v_add_co_u32 v32, null, 0x1715609d, v11
	v_add_co_u32 v33, null, 0xb54cda56, v11
	;; [unrolled: 1-line block ×3, first 2 shown]
	v_xor3_b32 v8, v22, v4, v5
	v_mad_u64_u32 v[4:5], null, 0xd2511f53, v1, 0
	s_load_b256 s[4:11], s[0:1], 0x30
	v_add_co_u32 v30, null, 0x5384540f, v11
	s_delay_alu instid0(VALU_DEP_3) | instskip(SKIP_1) | instid1(VALU_DEP_4)
	v_mad_u64_u32 v[6:7], null, 0xcd9e8d57, v8, 0
	v_add_co_u32 v37, null, 0x1fd5c5a3, v9
	v_xor3_b32 v2, v23, v5, v3
	s_clause 0x1
	s_load_b64 s[20:21], s[0:1], 0xf4
	s_load_b128 s[12:15], s[0:1], 0x138
	v_add_co_u32 v34, null, 0xf1bbcdc8, v11
	s_delay_alu instid0(VALU_DEP_4) | instskip(SKIP_2) | instid1(VALU_DEP_3)
	v_xor3_b32 v5, v24, v7, v0
	v_mad_u64_u32 v[0:1], null, 0xcd9e8d57, v2, 0
	v_add_co_u32 v38, null, 0xdb3d7428, v9
	v_mad_u64_u32 v[2:3], null, 0xd2511f53, v5, 0
	s_add_u32 s18, s0, 48
	s_addc_u32 s19, s1, 0
	s_delay_alu instid0(VALU_DEP_3)
	v_xor3_b32 v1, v28, v1, v6
	s_waitcnt lgkmcnt(0)
	s_add_i32 s22, s4, -1
	v_add_nc_u32_e32 v27, 0x96a522ad, v12
	s_cmp_gt_u32 s22, 1
	v_xor3_b32 v7, v29, v3, v4
	v_mad_u64_u32 v[3:4], null, 0xd2511f53, v1, 0
	s_cselect_b32 s11, -1, 0
	s_cmp_lg_u32 s4, 0
	s_delay_alu instid0(VALU_DEP_2) | instskip(SKIP_2) | instid1(VALU_DEP_2)
	v_mad_u64_u32 v[5:6], null, 0xcd9e8d57, v7, 0
	s_cselect_b32 s29, -1, 0
	s_add_u32 s0, s0, 0xf4
	v_xor3_b32 v2, v31, v4, v2
	s_addc_u32 s1, s1, 0
	s_min_u32 s23, s22, 15
	s_cmp_gt_u32 s4, 1
	s_delay_alu instid0(VALU_DEP_2) | instskip(SKIP_3) | instid1(VALU_DEP_2)
	v_xor3_b32 v4, v32, v6, v0
	v_mad_u64_u32 v[0:1], null, 0xcd9e8d57, v2, 0
	s_mov_b32 s4, s9
	s_cselect_b32 s9, -1, 0
	v_mad_u64_u32 v[6:7], null, 0xd2511f53, v4, 0
	s_add_i32 s23, s23, 1
	s_lshr_b32 s30, s15, 16
	s_delay_alu instid0(VALU_DEP_2) | instskip(SKIP_3) | instid1(VALU_DEP_2)
	v_xor3_b32 v4, v33, v1, v5
	s_lshl_b32 s31, s26, 1
	s_and_b32 s33, s23, 3
	s_cmp_lg_u32 s22, 2
	v_xor3_b32 v5, v36, v7, v3
	v_mad_u64_u32 v[1:2], null, 0xd2511f53, v4, 0
	v_mov_b32_e32 v35, v13
	v_cvt_f32_f16_e32 v39, s15
	s_delay_alu instid0(VALU_DEP_4) | instskip(SKIP_2) | instid1(VALU_DEP_4)
	v_mad_u64_u32 v[3:4], null, 0xcd9e8d57, v5, 0
	s_cselect_b32 s34, -1, 0
	s_and_b32 s35, s23, 28
	v_xor3_b32 v2, v37, v2, v6
	s_cmp_lg_u32 s33, 0
	s_mov_b32 s28, 0
	s_mul_i32 s36, s26, 3
	s_delay_alu instid0(VALU_DEP_2) | instskip(SKIP_2) | instid1(VALU_DEP_2)
	v_xor3_b32 v0, v30, v4, v0
	v_mad_u64_u32 v[4:5], null, 0xcd9e8d57, v2, 0
	s_cselect_b32 s37, -1, 0
	v_mad_u64_u32 v[6:7], null, 0xd2511f53, v0, 0
	s_delay_alu instid0(VALU_DEP_2) | instskip(NEXT) | instid1(VALU_DEP_2)
	v_xor3_b32 v0, v34, v5, v3
	v_xor3_b32 v3, v38, v7, v1
	s_delay_alu instid0(VALU_DEP_2) | instskip(NEXT) | instid1(VALU_DEP_2)
	v_mad_u64_u32 v[7:8], null, 0xd2511f53, v0, 0
	v_mad_u64_u32 v[1:2], null, 0xcd9e8d57, v3, 0
	s_delay_alu instid0(VALU_DEP_2) | instskip(NEXT) | instid1(VALU_DEP_2)
	v_mov_b32_e32 v3, v7
	v_xor3_b32 v0, v2, v4, v26
	s_delay_alu instid0(VALU_DEP_4)
	v_xor3_b32 v2, v8, v6, v27
	s_branch .LBB11_9
.LBB11_7:                               ;   in Loop: Header=BB11_9 Depth=1
	v_cvt_f32_u32_e32 v0, v3
	s_delay_alu instid0(VALU_DEP_1) | instskip(NEXT) | instid1(VALU_DEP_1)
	v_fmaak_f32 v0, 0x2f800000, v0, 0x2f800000
	v_fma_mixlo_f16 v0, v0, s14, v39
	s_delay_alu instid0(VALU_DEP_1)
	v_cmp_eq_f16_e32 vcc_lo, s30, v0
	v_cndmask_b32_e64 v0, v0, s15, vcc_lo
	global_store_b16 v1, v0, s[12:13]
.LBB11_8:                               ;   in Loop: Header=BB11_9 Depth=1
	s_or_b32 exec_lo, exec_lo, s38
	v_add_co_u32 v13, vcc_lo, v13, s27
	v_add_co_ci_u32_e32 v14, vcc_lo, 0, v14, vcc_lo
	v_mov_b32_e32 v7, v15
	v_dual_mov_b32 v0, v4 :: v_dual_mov_b32 v1, v5
	s_delay_alu instid0(VALU_DEP_3) | instskip(NEXT) | instid1(VALU_DEP_3)
	v_cmp_le_i64_e32 vcc_lo, s[2:3], v[13:14]
	v_dual_mov_b32 v2, v6 :: v_dual_mov_b32 v3, v7
	s_waitcnt_vscnt null, 0x0
	s_barrier
	buffer_gl0_inv
	s_or_b32 s28, vcc_lo, s28
	s_delay_alu instid0(SALU_CYCLE_1)
	s_and_not1_b32 exec_lo, exec_lo, s28
	s_cbranch_execz .LBB11_78
.LBB11_9:                               ; =>This Loop Header: Depth=1
                                        ;     Child Loop BB11_24 Depth 2
                                        ;     Child Loop BB11_29 Depth 2
	;; [unrolled: 1-line block ×8, first 2 shown]
	v_add_co_u32 v17, vcc_lo, v17, 1
	s_delay_alu instid0(VALU_DEP_1) | instskip(SKIP_2) | instid1(VALU_DEP_1)
	v_cndmask_b32_e64 v4, 0, 1, vcc_lo
	v_add_co_ci_u32_e32 v18, vcc_lo, 0, v18, vcc_lo
	s_mov_b32 s22, exec_lo
	v_cmp_eq_u32_e32 vcc_lo, 0, v18
	s_delay_alu instid0(VALU_DEP_3) | instskip(NEXT) | instid1(VALU_DEP_1)
	v_cndmask_b32_e32 v4, 0, v4, vcc_lo
	v_add_nc_u32_e32 v35, v4, v35
	s_delay_alu instid0(VALU_DEP_1) | instskip(SKIP_2) | instid1(VALU_DEP_2)
	v_cmp_eq_u32_e32 vcc_lo, 0, v35
	v_cndmask_b32_e32 v4, 0, v4, vcc_lo
	v_mad_u64_u32 v[6:7], null, 0xcd9e8d57, v35, 0
	v_add_nc_u32_e32 v40, v4, v40
	v_mad_u64_u32 v[4:5], null, 0xd2511f53, v17, 0
	s_delay_alu instid0(VALU_DEP_3) | instskip(NEXT) | instid1(VALU_DEP_2)
	v_xor3_b32 v9, v7, v11, v18
	v_xor_b32_e32 v5, v5, v12
	s_delay_alu instid0(VALU_DEP_2) | instskip(NEXT) | instid1(VALU_DEP_2)
	v_mad_u64_u32 v[7:8], null, 0xd2511f53, v9, 0
	v_xor_b32_e32 v5, v40, v5
	s_delay_alu instid0(VALU_DEP_2) | instskip(NEXT) | instid1(VALU_DEP_2)
	v_xor3_b32 v8, v19, v8, v4
	v_mad_u64_u32 v[9:10], null, 0xcd9e8d57, v5, 0
	s_delay_alu instid0(VALU_DEP_2) | instskip(NEXT) | instid1(VALU_DEP_2)
	v_mad_u64_u32 v[4:5], null, 0xcd9e8d57, v8, 0
	v_xor3_b32 v6, v20, v10, v6
	s_delay_alu instid0(VALU_DEP_2) | instskip(NEXT) | instid1(VALU_DEP_2)
	v_xor3_b32 v8, v21, v5, v9
	v_mad_u64_u32 v[15:16], null, 0xd2511f53, v6, 0
	s_delay_alu instid0(VALU_DEP_2) | instskip(NEXT) | instid1(VALU_DEP_2)
	v_mad_u64_u32 v[5:6], null, 0xd2511f53, v8, 0
	v_xor3_b32 v9, v22, v16, v7
	s_delay_alu instid0(VALU_DEP_2) | instskip(NEXT) | instid1(VALU_DEP_2)
	v_xor3_b32 v6, v23, v6, v15
	v_mad_u64_u32 v[7:8], null, 0xcd9e8d57, v9, 0
	s_delay_alu instid0(VALU_DEP_1) | instskip(NEXT) | instid1(VALU_DEP_3)
	v_xor3_b32 v4, v24, v8, v4
	v_mad_u64_u32 v[8:9], null, 0xcd9e8d57, v6, 0
	s_delay_alu instid0(VALU_DEP_2) | instskip(NEXT) | instid1(VALU_DEP_2)
	v_mad_u64_u32 v[15:16], null, 0xd2511f53, v4, 0
	v_xor3_b32 v6, v28, v9, v7
	s_delay_alu instid0(VALU_DEP_2) | instskip(NEXT) | instid1(VALU_DEP_2)
	v_xor3_b32 v9, v29, v16, v5
	v_mad_u64_u32 v[4:5], null, 0xd2511f53, v6, 0
	s_delay_alu instid0(VALU_DEP_2) | instskip(NEXT) | instid1(VALU_DEP_2)
	v_mad_u64_u32 v[6:7], null, 0xcd9e8d57, v9, 0
	v_xor3_b32 v5, v31, v5, v15
	s_delay_alu instid0(VALU_DEP_2) | instskip(NEXT) | instid1(VALU_DEP_2)
	;; [unrolled: 6-line block ×6, first 2 shown]
	v_xor3_b32 v4, v6, v7, v26
	v_mov_b32_e32 v6, v10
	v_cmpx_lt_i32_e32 1, v25
	s_xor_b32 s22, exec_lo, s22
	s_cbranch_execnz .LBB11_12
; %bb.10:                               ;   in Loop: Header=BB11_9 Depth=1
	s_and_not1_saveexec_b32 s22, s22
	s_cbranch_execnz .LBB11_17
.LBB11_11:                              ;   in Loop: Header=BB11_9 Depth=1
	s_or_b32 exec_lo, exec_lo, s22
	s_delay_alu instid0(SALU_CYCLE_1)
	s_mov_b32 s38, exec_lo
	v_cmpx_gt_i64_e64 s[16:17], v[13:14]
	s_cbranch_execnz .LBB11_20
	s_branch .LBB11_34
.LBB11_12:                              ;   in Loop: Header=BB11_9 Depth=1
	s_mov_b32 s23, exec_lo
	v_cmpx_lt_i32_e32 2, v25
	s_xor_b32 s23, exec_lo, s23
; %bb.13:                               ;   in Loop: Header=BB11_9 Depth=1
	v_dual_mov_b32 v7, v3 :: v_dual_mov_b32 v8, v4
	v_mov_b32_e32 v9, v5
	s_delay_alu instid0(VALU_DEP_2) | instskip(NEXT) | instid1(VALU_DEP_2)
	v_dual_mov_b32 v0, v7 :: v_dual_mov_b32 v1, v8
	v_dual_mov_b32 v2, v9 :: v_dual_mov_b32 v3, v10
; %bb.14:                               ;   in Loop: Header=BB11_9 Depth=1
	s_and_not1_saveexec_b32 s23, s23
; %bb.15:                               ;   in Loop: Header=BB11_9 Depth=1
	s_delay_alu instid0(VALU_DEP_1)
	v_dual_mov_b32 v0, v2 :: v_dual_mov_b32 v1, v3
	v_dual_mov_b32 v2, v4 :: v_dual_mov_b32 v3, v5
; %bb.16:                               ;   in Loop: Header=BB11_9 Depth=1
	s_or_b32 exec_lo, exec_lo, s23
	s_and_not1_saveexec_b32 s22, s22
	s_cbranch_execz .LBB11_11
.LBB11_17:                              ;   in Loop: Header=BB11_9 Depth=1
	s_mov_b32 s23, exec_lo
	v_cmpx_eq_u32_e32 1, v25
; %bb.18:                               ;   in Loop: Header=BB11_9 Depth=1
	v_dual_mov_b32 v0, v1 :: v_dual_mov_b32 v1, v2
	v_dual_mov_b32 v2, v3 :: v_dual_mov_b32 v3, v4
; %bb.19:                               ;   in Loop: Header=BB11_9 Depth=1
	s_or_b32 exec_lo, exec_lo, s23
	s_delay_alu instid0(SALU_CYCLE_1) | instskip(NEXT) | instid1(SALU_CYCLE_1)
	s_or_b32 exec_lo, exec_lo, s22
	s_mov_b32 s38, exec_lo
	v_cmpx_gt_i64_e64 s[16:17], v[13:14]
	s_cbranch_execz .LBB11_34
.LBB11_20:                              ;   in Loop: Header=BB11_9 Depth=1
	s_and_not1_b32 vcc_lo, exec_lo, s11
	s_cbranch_vccnz .LBB11_26
; %bb.21:                               ;   in Loop: Header=BB11_9 Depth=1
	v_mov_b32_e32 v7, 0
	s_and_not1_b32 vcc_lo, exec_lo, s29
	s_cbranch_vccnz .LBB11_30
; %bb.22:                               ;   in Loop: Header=BB11_9 Depth=1
	s_and_not1_b32 vcc_lo, exec_lo, s34
	s_mov_b32 s22, 0
	s_cbranch_vccnz .LBB11_27
; %bb.23:                               ;   in Loop: Header=BB11_9 Depth=1
	v_dual_mov_b32 v7, 0 :: v_dual_mov_b32 v8, v13
	s_mov_b32 s39, 0
	s_mov_b64 s[22:23], s[18:19]
	s_mov_b64 s[24:25], s[0:1]
.LBB11_24:                              ;   Parent Loop BB11_9 Depth=1
                                        ; =>  This Inner Loop Header: Depth=2
	s_clause 0x1
	s_load_b256 s[40:47], s[22:23], 0x4
	s_load_b128 s[48:51], s[22:23], 0x24
	s_load_b128 s[52:55], s[24:25], 0x0
	s_add_u32 s22, s22, 48
	s_addc_u32 s23, s23, 0
	s_add_i32 s39, s39, 4
	s_add_u32 s24, s24, 16
	s_addc_u32 s25, s25, 0
	s_cmp_lg_u32 s35, s39
	s_waitcnt lgkmcnt(0)
	v_mul_hi_u32 v9, s41, v8
	s_delay_alu instid0(VALU_DEP_1) | instskip(NEXT) | instid1(VALU_DEP_1)
	v_add_nc_u32_e32 v9, v8, v9
	v_lshrrev_b32_e32 v9, s42, v9
	s_delay_alu instid0(VALU_DEP_1) | instskip(SKIP_1) | instid1(VALU_DEP_2)
	v_mul_hi_u32 v10, s44, v9
	v_mul_lo_u32 v42, v9, s40
	v_add_nc_u32_e32 v10, v9, v10
	s_delay_alu instid0(VALU_DEP_2) | instskip(NEXT) | instid1(VALU_DEP_2)
	v_sub_nc_u32_e32 v42, v8, v42
	v_lshrrev_b32_e32 v10, s45, v10
	s_delay_alu instid0(VALU_DEP_2) | instskip(NEXT) | instid1(VALU_DEP_2)
	v_mul_lo_u32 v42, v42, s52
	v_mul_hi_u32 v16, s47, v10
	v_mul_lo_u32 v43, v10, s43
	s_delay_alu instid0(VALU_DEP_2) | instskip(NEXT) | instid1(VALU_DEP_2)
	v_add_nc_u32_e32 v16, v10, v16
	v_sub_nc_u32_e32 v9, v9, v43
	s_delay_alu instid0(VALU_DEP_2) | instskip(NEXT) | instid1(VALU_DEP_2)
	v_lshrrev_b32_e32 v16, s48, v16
	v_mul_lo_u32 v9, v9, s53
	s_delay_alu instid0(VALU_DEP_2) | instskip(NEXT) | instid1(VALU_DEP_2)
	v_mul_hi_u32 v41, s50, v16
	v_add3_u32 v7, v42, v7, v9
	s_delay_alu instid0(VALU_DEP_2) | instskip(NEXT) | instid1(VALU_DEP_1)
	v_add_nc_u32_e32 v41, v16, v41
	v_lshrrev_b32_e32 v8, s51, v41
	v_mul_lo_u32 v41, v16, s46
	s_delay_alu instid0(VALU_DEP_2) | instskip(NEXT) | instid1(VALU_DEP_2)
	v_mul_lo_u32 v44, v8, s49
	v_sub_nc_u32_e32 v10, v10, v41
	s_delay_alu instid0(VALU_DEP_2) | instskip(NEXT) | instid1(VALU_DEP_2)
	v_sub_nc_u32_e32 v16, v16, v44
	v_mul_lo_u32 v10, v10, s54
	s_delay_alu instid0(VALU_DEP_2) | instskip(NEXT) | instid1(VALU_DEP_1)
	v_mul_lo_u32 v16, v16, s55
	v_add3_u32 v7, v10, v7, v16
	s_cbranch_scc1 .LBB11_24
; %bb.25:                               ;   in Loop: Header=BB11_9 Depth=1
	s_mov_b32 s22, s35
	s_and_not1_b32 vcc_lo, exec_lo, s37
	s_cbranch_vccz .LBB11_28
	s_branch .LBB11_30
.LBB11_26:                              ;   in Loop: Header=BB11_9 Depth=1
                                        ; implicit-def: $vgpr7
	s_branch .LBB11_31
.LBB11_27:                              ;   in Loop: Header=BB11_9 Depth=1
	v_mov_b32_e32 v8, v13
	s_and_not1_b32 vcc_lo, exec_lo, s37
	s_cbranch_vccnz .LBB11_30
.LBB11_28:                              ;   in Loop: Header=BB11_9 Depth=1
	s_lshl_b32 s23, s22, 2
	s_mul_i32 s24, s22, 12
	s_add_u32 s22, s0, s23
	s_addc_u32 s23, s1, 0
	s_add_u32 s24, s18, s24
	s_addc_u32 s25, s19, 0
	s_mov_b32 s39, s33
	.p2align	6
.LBB11_29:                              ;   Parent Loop BB11_9 Depth=1
                                        ; =>  This Inner Loop Header: Depth=2
	s_clause 0x1
	s_load_b64 s[40:41], s[24:25], 0x4
	s_load_b32 s42, s[24:25], 0xc
	s_add_u32 s24, s24, 12
	s_addc_u32 s25, s25, 0
	s_waitcnt lgkmcnt(0)
	v_mul_hi_u32 v9, s41, v8
	s_load_b32 s41, s[22:23], 0x0
	s_add_u32 s22, s22, 4
	s_addc_u32 s23, s23, 0
	s_add_i32 s39, s39, -1
	s_delay_alu instid0(SALU_CYCLE_1) | instskip(NEXT) | instid1(VALU_DEP_1)
	s_cmp_lg_u32 s39, 0
	v_add_nc_u32_e32 v9, v8, v9
	s_delay_alu instid0(VALU_DEP_1) | instskip(NEXT) | instid1(VALU_DEP_1)
	v_lshrrev_b32_e32 v16, s42, v9
	v_mul_lo_u32 v9, v16, s40
	s_delay_alu instid0(VALU_DEP_1) | instskip(SKIP_1) | instid1(VALU_DEP_1)
	v_sub_nc_u32_e32 v8, v8, v9
	s_waitcnt lgkmcnt(0)
	v_mad_u64_u32 v[9:10], null, v8, s41, v[7:8]
	s_delay_alu instid0(VALU_DEP_1)
	v_dual_mov_b32 v8, v16 :: v_dual_mov_b32 v7, v9
	s_cbranch_scc1 .LBB11_29
.LBB11_30:                              ;   in Loop: Header=BB11_9 Depth=1
	s_cbranch_execnz .LBB11_33
.LBB11_31:                              ;   in Loop: Header=BB11_9 Depth=1
	v_mul_hi_u32 v7, v13, s6
	s_and_not1_b32 vcc_lo, exec_lo, s9
	s_delay_alu instid0(VALU_DEP_1) | instskip(NEXT) | instid1(VALU_DEP_1)
	v_add_nc_u32_e32 v7, v7, v13
	v_lshrrev_b32_e32 v8, s7, v7
	s_delay_alu instid0(VALU_DEP_1) | instskip(NEXT) | instid1(VALU_DEP_1)
	v_mul_lo_u32 v7, v8, s5
	v_sub_nc_u32_e32 v7, v13, v7
	s_delay_alu instid0(VALU_DEP_1)
	v_mul_lo_u32 v7, v7, s20
	s_cbranch_vccnz .LBB11_33
; %bb.32:                               ;   in Loop: Header=BB11_9 Depth=1
	v_mul_hi_u32 v9, s4, v8
	s_delay_alu instid0(VALU_DEP_1) | instskip(NEXT) | instid1(VALU_DEP_1)
	v_add_nc_u32_e32 v9, v8, v9
	v_lshrrev_b32_e32 v9, s10, v9
	s_delay_alu instid0(VALU_DEP_1) | instskip(NEXT) | instid1(VALU_DEP_1)
	v_mul_lo_u32 v9, v9, s8
	v_sub_nc_u32_e32 v10, v8, v9
	s_delay_alu instid0(VALU_DEP_1) | instskip(NEXT) | instid1(VALU_DEP_1)
	v_mad_u64_u32 v[8:9], null, v10, s21, v[7:8]
	v_mov_b32_e32 v7, v8
.LBB11_33:                              ;   in Loop: Header=BB11_9 Depth=1
	v_cvt_f32_u32_e32 v0, v0
	s_delay_alu instid0(VALU_DEP_1) | instskip(NEXT) | instid1(VALU_DEP_1)
	v_fmaak_f32 v0, 0x2f800000, v0, 0x2f800000
	v_fma_mixlo_f16 v0, v0, s14, v39
	s_delay_alu instid0(VALU_DEP_1)
	v_cmp_eq_f16_e32 vcc_lo, s30, v0
	v_cndmask_b32_e64 v0, v0, s15, vcc_lo
	global_store_b16 v7, v0, s[12:13]
.LBB11_34:                              ;   in Loop: Header=BB11_9 Depth=1
	s_or_b32 exec_lo, exec_lo, s38
	v_add_co_u32 v7, vcc_lo, v13, s26
	v_add_co_ci_u32_e32 v8, vcc_lo, 0, v14, vcc_lo
	s_mov_b32 s38, exec_lo
	s_delay_alu instid0(VALU_DEP_1)
	v_cmpx_gt_i64_e64 s[16:17], v[7:8]
	s_cbranch_execz .LBB11_49
; %bb.35:                               ;   in Loop: Header=BB11_9 Depth=1
	s_and_not1_b32 vcc_lo, exec_lo, s11
	s_cbranch_vccnz .LBB11_41
; %bb.36:                               ;   in Loop: Header=BB11_9 Depth=1
	v_mov_b32_e32 v0, 0
	s_and_not1_b32 vcc_lo, exec_lo, s29
	s_cbranch_vccnz .LBB11_45
; %bb.37:                               ;   in Loop: Header=BB11_9 Depth=1
	s_and_not1_b32 vcc_lo, exec_lo, s34
	s_mov_b32 s22, 0
	s_cbranch_vccnz .LBB11_42
; %bb.38:                               ;   in Loop: Header=BB11_9 Depth=1
	v_mov_b32_e32 v0, 0
	v_mov_b32_e32 v8, v7
	s_mov_b32 s39, 0
	s_mov_b64 s[22:23], s[18:19]
	s_mov_b64 s[24:25], s[0:1]
.LBB11_39:                              ;   Parent Loop BB11_9 Depth=1
                                        ; =>  This Inner Loop Header: Depth=2
	s_clause 0x1
	s_load_b256 s[40:47], s[22:23], 0x4
	s_load_b128 s[48:51], s[22:23], 0x24
	s_load_b128 s[52:55], s[24:25], 0x0
	s_add_u32 s22, s22, 48
	s_addc_u32 s23, s23, 0
	s_add_i32 s39, s39, 4
	s_add_u32 s24, s24, 16
	s_addc_u32 s25, s25, 0
	s_cmp_eq_u32 s35, s39
	s_waitcnt lgkmcnt(0)
	v_mul_hi_u32 v9, s41, v8
	s_delay_alu instid0(VALU_DEP_1) | instskip(NEXT) | instid1(VALU_DEP_1)
	v_add_nc_u32_e32 v9, v8, v9
	v_lshrrev_b32_e32 v9, s42, v9
	s_delay_alu instid0(VALU_DEP_1) | instskip(SKIP_1) | instid1(VALU_DEP_2)
	v_mul_hi_u32 v10, s44, v9
	v_mul_lo_u32 v42, v9, s40
	v_add_nc_u32_e32 v10, v9, v10
	s_delay_alu instid0(VALU_DEP_2) | instskip(NEXT) | instid1(VALU_DEP_2)
	v_sub_nc_u32_e32 v42, v8, v42
	v_lshrrev_b32_e32 v10, s45, v10
	s_delay_alu instid0(VALU_DEP_2) | instskip(NEXT) | instid1(VALU_DEP_2)
	v_mul_lo_u32 v42, v42, s52
	v_mul_hi_u32 v16, s47, v10
	v_mul_lo_u32 v43, v10, s43
	s_delay_alu instid0(VALU_DEP_2) | instskip(NEXT) | instid1(VALU_DEP_2)
	v_add_nc_u32_e32 v16, v10, v16
	v_sub_nc_u32_e32 v9, v9, v43
	s_delay_alu instid0(VALU_DEP_2) | instskip(NEXT) | instid1(VALU_DEP_2)
	v_lshrrev_b32_e32 v16, s48, v16
	v_mul_lo_u32 v9, v9, s53
	s_delay_alu instid0(VALU_DEP_2) | instskip(NEXT) | instid1(VALU_DEP_2)
	v_mul_hi_u32 v41, s50, v16
	v_add3_u32 v0, v42, v0, v9
	s_delay_alu instid0(VALU_DEP_2) | instskip(NEXT) | instid1(VALU_DEP_1)
	v_add_nc_u32_e32 v41, v16, v41
	v_lshrrev_b32_e32 v8, s51, v41
	v_mul_lo_u32 v41, v16, s46
	s_delay_alu instid0(VALU_DEP_2) | instskip(NEXT) | instid1(VALU_DEP_2)
	v_mul_lo_u32 v44, v8, s49
	v_sub_nc_u32_e32 v10, v10, v41
	s_delay_alu instid0(VALU_DEP_2) | instskip(NEXT) | instid1(VALU_DEP_2)
	v_sub_nc_u32_e32 v16, v16, v44
	v_mul_lo_u32 v10, v10, s54
	s_delay_alu instid0(VALU_DEP_2) | instskip(NEXT) | instid1(VALU_DEP_1)
	v_mul_lo_u32 v16, v16, s55
	v_add3_u32 v0, v10, v0, v16
	s_cbranch_scc0 .LBB11_39
; %bb.40:                               ;   in Loop: Header=BB11_9 Depth=1
	s_mov_b32 s22, s35
	s_and_not1_b32 vcc_lo, exec_lo, s37
	s_cbranch_vccz .LBB11_43
	s_branch .LBB11_45
.LBB11_41:                              ;   in Loop: Header=BB11_9 Depth=1
                                        ; implicit-def: $vgpr0
	s_branch .LBB11_46
.LBB11_42:                              ;   in Loop: Header=BB11_9 Depth=1
	v_mov_b32_e32 v8, v7
	s_and_not1_b32 vcc_lo, exec_lo, s37
	s_cbranch_vccnz .LBB11_45
.LBB11_43:                              ;   in Loop: Header=BB11_9 Depth=1
	s_lshl_b32 s23, s22, 2
	s_mul_i32 s24, s22, 12
	s_add_u32 s22, s0, s23
	s_addc_u32 s23, s1, 0
	s_add_u32 s24, s18, s24
	s_addc_u32 s25, s19, 0
	s_mov_b32 s39, s33
	.p2align	6
.LBB11_44:                              ;   Parent Loop BB11_9 Depth=1
                                        ; =>  This Inner Loop Header: Depth=2
	s_clause 0x1
	s_load_b64 s[40:41], s[24:25], 0x4
	s_load_b32 s42, s[24:25], 0xc
	s_add_u32 s24, s24, 12
	s_addc_u32 s25, s25, 0
	s_waitcnt lgkmcnt(0)
	v_mul_hi_u32 v9, s41, v8
	s_load_b32 s41, s[22:23], 0x0
	s_add_u32 s22, s22, 4
	s_addc_u32 s23, s23, 0
	s_add_i32 s39, s39, -1
	s_delay_alu instid0(SALU_CYCLE_1) | instskip(NEXT) | instid1(VALU_DEP_1)
	s_cmp_lg_u32 s39, 0
	v_add_nc_u32_e32 v9, v8, v9
	s_delay_alu instid0(VALU_DEP_1) | instskip(NEXT) | instid1(VALU_DEP_1)
	v_lshrrev_b32_e32 v16, s42, v9
	v_mul_lo_u32 v9, v16, s40
	s_delay_alu instid0(VALU_DEP_1) | instskip(SKIP_1) | instid1(VALU_DEP_1)
	v_sub_nc_u32_e32 v8, v8, v9
	s_waitcnt lgkmcnt(0)
	v_mad_u64_u32 v[9:10], null, v8, s41, v[0:1]
	v_mov_b32_e32 v8, v16
	s_delay_alu instid0(VALU_DEP_2)
	v_mov_b32_e32 v0, v9
	s_cbranch_scc1 .LBB11_44
.LBB11_45:                              ;   in Loop: Header=BB11_9 Depth=1
	s_cbranch_execnz .LBB11_48
.LBB11_46:                              ;   in Loop: Header=BB11_9 Depth=1
	v_mul_hi_u32 v0, v7, s6
	s_and_not1_b32 vcc_lo, exec_lo, s9
	s_delay_alu instid0(VALU_DEP_1) | instskip(NEXT) | instid1(VALU_DEP_1)
	v_add_nc_u32_e32 v0, v0, v7
	v_lshrrev_b32_e32 v8, s7, v0
	s_delay_alu instid0(VALU_DEP_1) | instskip(NEXT) | instid1(VALU_DEP_1)
	v_mul_lo_u32 v0, v8, s5
	v_sub_nc_u32_e32 v0, v7, v0
	s_delay_alu instid0(VALU_DEP_1)
	v_mul_lo_u32 v0, v0, s20
	s_cbranch_vccnz .LBB11_48
; %bb.47:                               ;   in Loop: Header=BB11_9 Depth=1
	v_mul_hi_u32 v7, s4, v8
	s_delay_alu instid0(VALU_DEP_1) | instskip(NEXT) | instid1(VALU_DEP_1)
	v_add_nc_u32_e32 v7, v8, v7
	v_lshrrev_b32_e32 v7, s10, v7
	s_delay_alu instid0(VALU_DEP_1) | instskip(NEXT) | instid1(VALU_DEP_1)
	v_mul_lo_u32 v7, v7, s8
	v_sub_nc_u32_e32 v9, v8, v7
	s_delay_alu instid0(VALU_DEP_1) | instskip(NEXT) | instid1(VALU_DEP_1)
	v_mad_u64_u32 v[7:8], null, v9, s21, v[0:1]
	v_mov_b32_e32 v0, v7
.LBB11_48:                              ;   in Loop: Header=BB11_9 Depth=1
	v_cvt_f32_u32_e32 v1, v1
	s_delay_alu instid0(VALU_DEP_1) | instskip(NEXT) | instid1(VALU_DEP_1)
	v_fmaak_f32 v1, 0x2f800000, v1, 0x2f800000
	v_fma_mixlo_f16 v1, v1, s14, v39
	s_delay_alu instid0(VALU_DEP_1)
	v_cmp_eq_f16_e32 vcc_lo, s30, v1
	v_cndmask_b32_e64 v1, v1, s15, vcc_lo
	global_store_b16 v0, v1, s[12:13]
.LBB11_49:                              ;   in Loop: Header=BB11_9 Depth=1
	s_or_b32 exec_lo, exec_lo, s38
	v_add_co_u32 v0, vcc_lo, v13, s31
	v_add_co_ci_u32_e32 v1, vcc_lo, 0, v14, vcc_lo
	s_mov_b32 s38, exec_lo
	s_delay_alu instid0(VALU_DEP_1)
	v_cmpx_gt_i64_e64 s[16:17], v[0:1]
	s_cbranch_execz .LBB11_64
; %bb.50:                               ;   in Loop: Header=BB11_9 Depth=1
	s_and_not1_b32 vcc_lo, exec_lo, s11
	s_cbranch_vccnz .LBB11_56
; %bb.51:                               ;   in Loop: Header=BB11_9 Depth=1
	v_mov_b32_e32 v1, 0
	s_and_not1_b32 vcc_lo, exec_lo, s29
	s_cbranch_vccnz .LBB11_60
; %bb.52:                               ;   in Loop: Header=BB11_9 Depth=1
	s_and_not1_b32 vcc_lo, exec_lo, s34
	s_mov_b32 s22, 0
	s_cbranch_vccnz .LBB11_57
; %bb.53:                               ;   in Loop: Header=BB11_9 Depth=1
	v_mov_b32_e32 v1, 0
	v_mov_b32_e32 v7, v0
	s_mov_b32 s39, 0
	s_mov_b64 s[22:23], s[18:19]
	s_mov_b64 s[24:25], s[0:1]
.LBB11_54:                              ;   Parent Loop BB11_9 Depth=1
                                        ; =>  This Inner Loop Header: Depth=2
	s_clause 0x1
	s_load_b256 s[40:47], s[22:23], 0x4
	s_load_b128 s[48:51], s[22:23], 0x24
	s_load_b128 s[52:55], s[24:25], 0x0
	s_add_u32 s22, s22, 48
	s_addc_u32 s23, s23, 0
	s_add_i32 s39, s39, 4
	s_add_u32 s24, s24, 16
	s_addc_u32 s25, s25, 0
	s_cmp_eq_u32 s35, s39
	s_waitcnt lgkmcnt(0)
	v_mul_hi_u32 v8, s41, v7
	s_delay_alu instid0(VALU_DEP_1) | instskip(NEXT) | instid1(VALU_DEP_1)
	v_add_nc_u32_e32 v8, v7, v8
	v_lshrrev_b32_e32 v8, s42, v8
	s_delay_alu instid0(VALU_DEP_1) | instskip(SKIP_1) | instid1(VALU_DEP_2)
	v_mul_hi_u32 v9, s44, v8
	v_mul_lo_u32 v41, v8, s40
	v_add_nc_u32_e32 v9, v8, v9
	s_delay_alu instid0(VALU_DEP_2) | instskip(NEXT) | instid1(VALU_DEP_2)
	v_sub_nc_u32_e32 v41, v7, v41
	v_lshrrev_b32_e32 v9, s45, v9
	s_delay_alu instid0(VALU_DEP_2) | instskip(NEXT) | instid1(VALU_DEP_2)
	v_mul_lo_u32 v41, v41, s52
	v_mul_hi_u32 v10, s47, v9
	v_mul_lo_u32 v42, v9, s43
	s_delay_alu instid0(VALU_DEP_2) | instskip(NEXT) | instid1(VALU_DEP_2)
	v_add_nc_u32_e32 v10, v9, v10
	v_sub_nc_u32_e32 v8, v8, v42
	s_delay_alu instid0(VALU_DEP_2) | instskip(NEXT) | instid1(VALU_DEP_2)
	v_lshrrev_b32_e32 v10, s48, v10
	v_mul_lo_u32 v8, v8, s53
	s_delay_alu instid0(VALU_DEP_2) | instskip(NEXT) | instid1(VALU_DEP_2)
	v_mul_hi_u32 v16, s50, v10
	v_add3_u32 v1, v41, v1, v8
	s_delay_alu instid0(VALU_DEP_2) | instskip(NEXT) | instid1(VALU_DEP_1)
	v_add_nc_u32_e32 v16, v10, v16
	v_lshrrev_b32_e32 v7, s51, v16
	v_mul_lo_u32 v16, v10, s46
	s_delay_alu instid0(VALU_DEP_2) | instskip(NEXT) | instid1(VALU_DEP_2)
	v_mul_lo_u32 v43, v7, s49
	v_sub_nc_u32_e32 v9, v9, v16
	s_delay_alu instid0(VALU_DEP_2) | instskip(NEXT) | instid1(VALU_DEP_2)
	v_sub_nc_u32_e32 v10, v10, v43
	v_mul_lo_u32 v9, v9, s54
	s_delay_alu instid0(VALU_DEP_2) | instskip(NEXT) | instid1(VALU_DEP_1)
	v_mul_lo_u32 v10, v10, s55
	v_add3_u32 v1, v9, v1, v10
	s_cbranch_scc0 .LBB11_54
; %bb.55:                               ;   in Loop: Header=BB11_9 Depth=1
	s_mov_b32 s22, s35
	s_and_not1_b32 vcc_lo, exec_lo, s37
	s_cbranch_vccz .LBB11_58
	s_branch .LBB11_60
.LBB11_56:                              ;   in Loop: Header=BB11_9 Depth=1
                                        ; implicit-def: $vgpr1
	s_branch .LBB11_61
.LBB11_57:                              ;   in Loop: Header=BB11_9 Depth=1
	v_mov_b32_e32 v7, v0
	s_and_not1_b32 vcc_lo, exec_lo, s37
	s_cbranch_vccnz .LBB11_60
.LBB11_58:                              ;   in Loop: Header=BB11_9 Depth=1
	s_lshl_b32 s23, s22, 2
	s_mul_i32 s24, s22, 12
	s_add_u32 s22, s0, s23
	s_addc_u32 s23, s1, 0
	s_add_u32 s24, s18, s24
	s_addc_u32 s25, s19, 0
	s_mov_b32 s39, s33
	.p2align	6
.LBB11_59:                              ;   Parent Loop BB11_9 Depth=1
                                        ; =>  This Inner Loop Header: Depth=2
	s_clause 0x1
	s_load_b64 s[40:41], s[24:25], 0x4
	s_load_b32 s42, s[24:25], 0xc
	s_add_u32 s24, s24, 12
	s_addc_u32 s25, s25, 0
	s_waitcnt lgkmcnt(0)
	v_mul_hi_u32 v8, s41, v7
	s_load_b32 s41, s[22:23], 0x0
	s_add_u32 s22, s22, 4
	s_addc_u32 s23, s23, 0
	s_add_i32 s39, s39, -1
	s_delay_alu instid0(SALU_CYCLE_1) | instskip(NEXT) | instid1(VALU_DEP_1)
	s_cmp_lg_u32 s39, 0
	v_add_nc_u32_e32 v8, v7, v8
	s_delay_alu instid0(VALU_DEP_1) | instskip(NEXT) | instid1(VALU_DEP_1)
	v_lshrrev_b32_e32 v10, s42, v8
	v_mul_lo_u32 v8, v10, s40
	s_delay_alu instid0(VALU_DEP_1) | instskip(SKIP_1) | instid1(VALU_DEP_1)
	v_sub_nc_u32_e32 v7, v7, v8
	s_waitcnt lgkmcnt(0)
	v_mad_u64_u32 v[8:9], null, v7, s41, v[1:2]
	v_mov_b32_e32 v7, v10
	s_delay_alu instid0(VALU_DEP_2)
	v_mov_b32_e32 v1, v8
	s_cbranch_scc1 .LBB11_59
.LBB11_60:                              ;   in Loop: Header=BB11_9 Depth=1
	s_cbranch_execnz .LBB11_63
.LBB11_61:                              ;   in Loop: Header=BB11_9 Depth=1
	v_mul_hi_u32 v1, v0, s6
	s_and_not1_b32 vcc_lo, exec_lo, s9
	s_delay_alu instid0(VALU_DEP_1) | instskip(NEXT) | instid1(VALU_DEP_1)
	v_add_nc_u32_e32 v1, v1, v0
	v_lshrrev_b32_e32 v7, s7, v1
	s_delay_alu instid0(VALU_DEP_1) | instskip(NEXT) | instid1(VALU_DEP_1)
	v_mul_lo_u32 v1, v7, s5
	v_sub_nc_u32_e32 v0, v0, v1
	s_delay_alu instid0(VALU_DEP_1)
	v_mul_lo_u32 v1, v0, s20
	s_cbranch_vccnz .LBB11_63
; %bb.62:                               ;   in Loop: Header=BB11_9 Depth=1
	v_mul_hi_u32 v0, s4, v7
	s_delay_alu instid0(VALU_DEP_1) | instskip(NEXT) | instid1(VALU_DEP_1)
	v_add_nc_u32_e32 v0, v7, v0
	v_lshrrev_b32_e32 v0, s10, v0
	s_delay_alu instid0(VALU_DEP_1) | instskip(NEXT) | instid1(VALU_DEP_1)
	v_mul_lo_u32 v0, v0, s8
	v_sub_nc_u32_e32 v0, v7, v0
	s_delay_alu instid0(VALU_DEP_1) | instskip(NEXT) | instid1(VALU_DEP_1)
	v_mad_u64_u32 v[7:8], null, v0, s21, v[1:2]
	v_mov_b32_e32 v1, v7
.LBB11_63:                              ;   in Loop: Header=BB11_9 Depth=1
	v_cvt_f32_u32_e32 v0, v2
	s_delay_alu instid0(VALU_DEP_1) | instskip(NEXT) | instid1(VALU_DEP_1)
	v_fmaak_f32 v0, 0x2f800000, v0, 0x2f800000
	v_fma_mixlo_f16 v0, v0, s14, v39
	s_delay_alu instid0(VALU_DEP_1)
	v_cmp_eq_f16_e32 vcc_lo, s30, v0
	v_cndmask_b32_e64 v0, v0, s15, vcc_lo
	global_store_b16 v1, v0, s[12:13]
.LBB11_64:                              ;   in Loop: Header=BB11_9 Depth=1
	s_or_b32 exec_lo, exec_lo, s38
	v_add_co_u32 v0, vcc_lo, v13, s36
	v_add_co_ci_u32_e32 v1, vcc_lo, 0, v14, vcc_lo
	s_mov_b32 s38, exec_lo
	s_delay_alu instid0(VALU_DEP_1)
	v_cmpx_gt_i64_e64 s[16:17], v[0:1]
	s_cbranch_execz .LBB11_8
; %bb.65:                               ;   in Loop: Header=BB11_9 Depth=1
	s_and_not1_b32 vcc_lo, exec_lo, s11
	s_cbranch_vccnz .LBB11_71
; %bb.66:                               ;   in Loop: Header=BB11_9 Depth=1
	v_mov_b32_e32 v1, 0
	s_and_not1_b32 vcc_lo, exec_lo, s29
	s_cbranch_vccnz .LBB11_75
; %bb.67:                               ;   in Loop: Header=BB11_9 Depth=1
	s_and_not1_b32 vcc_lo, exec_lo, s34
	s_mov_b32 s22, 0
	s_cbranch_vccnz .LBB11_72
; %bb.68:                               ;   in Loop: Header=BB11_9 Depth=1
	v_dual_mov_b32 v1, 0 :: v_dual_mov_b32 v2, v0
	s_mov_b32 s39, 0
	s_mov_b64 s[22:23], s[18:19]
	s_mov_b64 s[24:25], s[0:1]
.LBB11_69:                              ;   Parent Loop BB11_9 Depth=1
                                        ; =>  This Inner Loop Header: Depth=2
	s_clause 0x1
	s_load_b256 s[40:47], s[22:23], 0x4
	s_load_b128 s[48:51], s[22:23], 0x24
	s_load_b128 s[52:55], s[24:25], 0x0
	s_add_u32 s22, s22, 48
	s_addc_u32 s23, s23, 0
	s_add_i32 s39, s39, 4
	s_add_u32 s24, s24, 16
	s_addc_u32 s25, s25, 0
	s_cmp_eq_u32 s35, s39
	s_waitcnt lgkmcnt(0)
	v_mul_hi_u32 v7, s41, v2
	s_delay_alu instid0(VALU_DEP_1) | instskip(NEXT) | instid1(VALU_DEP_1)
	v_add_nc_u32_e32 v7, v2, v7
	v_lshrrev_b32_e32 v7, s42, v7
	s_delay_alu instid0(VALU_DEP_1) | instskip(SKIP_1) | instid1(VALU_DEP_2)
	v_mul_hi_u32 v8, s44, v7
	v_mul_lo_u32 v16, v7, s40
	v_add_nc_u32_e32 v8, v7, v8
	s_delay_alu instid0(VALU_DEP_2) | instskip(NEXT) | instid1(VALU_DEP_2)
	v_sub_nc_u32_e32 v16, v2, v16
	v_lshrrev_b32_e32 v8, s45, v8
	s_delay_alu instid0(VALU_DEP_2) | instskip(NEXT) | instid1(VALU_DEP_2)
	v_mul_lo_u32 v16, v16, s52
	v_mul_hi_u32 v9, s47, v8
	v_mul_lo_u32 v41, v8, s43
	s_delay_alu instid0(VALU_DEP_2) | instskip(NEXT) | instid1(VALU_DEP_2)
	v_add_nc_u32_e32 v9, v8, v9
	v_sub_nc_u32_e32 v7, v7, v41
	s_delay_alu instid0(VALU_DEP_2) | instskip(NEXT) | instid1(VALU_DEP_2)
	v_lshrrev_b32_e32 v9, s48, v9
	v_mul_lo_u32 v7, v7, s53
	s_delay_alu instid0(VALU_DEP_2) | instskip(NEXT) | instid1(VALU_DEP_2)
	v_mul_hi_u32 v10, s50, v9
	v_add3_u32 v1, v16, v1, v7
	s_delay_alu instid0(VALU_DEP_2) | instskip(NEXT) | instid1(VALU_DEP_1)
	v_add_nc_u32_e32 v10, v9, v10
	v_lshrrev_b32_e32 v2, s51, v10
	v_mul_lo_u32 v10, v9, s46
	s_delay_alu instid0(VALU_DEP_2) | instskip(NEXT) | instid1(VALU_DEP_2)
	v_mul_lo_u32 v42, v2, s49
	v_sub_nc_u32_e32 v8, v8, v10
	s_delay_alu instid0(VALU_DEP_2) | instskip(NEXT) | instid1(VALU_DEP_2)
	v_sub_nc_u32_e32 v9, v9, v42
	v_mul_lo_u32 v8, v8, s54
	s_delay_alu instid0(VALU_DEP_2) | instskip(NEXT) | instid1(VALU_DEP_1)
	v_mul_lo_u32 v9, v9, s55
	v_add3_u32 v1, v8, v1, v9
	s_cbranch_scc0 .LBB11_69
; %bb.70:                               ;   in Loop: Header=BB11_9 Depth=1
	s_mov_b32 s22, s35
	s_and_not1_b32 vcc_lo, exec_lo, s37
	s_cbranch_vccz .LBB11_73
	s_branch .LBB11_75
.LBB11_71:                              ;   in Loop: Header=BB11_9 Depth=1
                                        ; implicit-def: $vgpr1
	s_branch .LBB11_76
.LBB11_72:                              ;   in Loop: Header=BB11_9 Depth=1
	v_mov_b32_e32 v2, v0
	s_and_not1_b32 vcc_lo, exec_lo, s37
	s_cbranch_vccnz .LBB11_75
.LBB11_73:                              ;   in Loop: Header=BB11_9 Depth=1
	s_lshl_b32 s23, s22, 2
	s_mul_i32 s24, s22, 12
	s_add_u32 s22, s0, s23
	s_addc_u32 s23, s1, 0
	s_add_u32 s24, s18, s24
	s_addc_u32 s25, s19, 0
	s_mov_b32 s39, s33
	.p2align	6
.LBB11_74:                              ;   Parent Loop BB11_9 Depth=1
                                        ; =>  This Inner Loop Header: Depth=2
	s_clause 0x1
	s_load_b64 s[40:41], s[24:25], 0x4
	s_load_b32 s42, s[24:25], 0xc
	s_add_u32 s24, s24, 12
	s_addc_u32 s25, s25, 0
	s_waitcnt lgkmcnt(0)
	v_mul_hi_u32 v7, s41, v2
	s_load_b32 s41, s[22:23], 0x0
	s_add_u32 s22, s22, 4
	s_addc_u32 s23, s23, 0
	s_add_i32 s39, s39, -1
	s_delay_alu instid0(SALU_CYCLE_1) | instskip(NEXT) | instid1(VALU_DEP_1)
	s_cmp_lg_u32 s39, 0
	v_add_nc_u32_e32 v7, v2, v7
	s_delay_alu instid0(VALU_DEP_1) | instskip(NEXT) | instid1(VALU_DEP_1)
	v_lshrrev_b32_e32 v9, s42, v7
	v_mul_lo_u32 v7, v9, s40
	s_delay_alu instid0(VALU_DEP_1) | instskip(SKIP_1) | instid1(VALU_DEP_1)
	v_sub_nc_u32_e32 v2, v2, v7
	s_waitcnt lgkmcnt(0)
	v_mad_u64_u32 v[7:8], null, v2, s41, v[1:2]
	s_delay_alu instid0(VALU_DEP_1)
	v_dual_mov_b32 v2, v9 :: v_dual_mov_b32 v1, v7
	s_cbranch_scc1 .LBB11_74
.LBB11_75:                              ;   in Loop: Header=BB11_9 Depth=1
	s_cbranch_execnz .LBB11_7
.LBB11_76:                              ;   in Loop: Header=BB11_9 Depth=1
	v_mul_hi_u32 v1, v0, s6
	s_and_not1_b32 vcc_lo, exec_lo, s9
	s_delay_alu instid0(VALU_DEP_1) | instskip(NEXT) | instid1(VALU_DEP_1)
	v_add_nc_u32_e32 v1, v1, v0
	v_lshrrev_b32_e32 v2, s7, v1
	s_delay_alu instid0(VALU_DEP_1) | instskip(NEXT) | instid1(VALU_DEP_1)
	v_mul_lo_u32 v1, v2, s5
	v_sub_nc_u32_e32 v0, v0, v1
	s_delay_alu instid0(VALU_DEP_1)
	v_mul_lo_u32 v1, v0, s20
	s_cbranch_vccnz .LBB11_7
; %bb.77:                               ;   in Loop: Header=BB11_9 Depth=1
	v_mul_hi_u32 v0, s4, v2
	s_delay_alu instid0(VALU_DEP_1) | instskip(NEXT) | instid1(VALU_DEP_1)
	v_add_nc_u32_e32 v0, v2, v0
	v_lshrrev_b32_e32 v0, s10, v0
	s_delay_alu instid0(VALU_DEP_1) | instskip(NEXT) | instid1(VALU_DEP_1)
	v_mul_lo_u32 v0, v0, s8
	v_sub_nc_u32_e32 v0, v2, v0
	s_delay_alu instid0(VALU_DEP_1) | instskip(NEXT) | instid1(VALU_DEP_1)
	v_mad_u64_u32 v[7:8], null, v0, s21, v[1:2]
	v_mov_b32_e32 v1, v7
	s_branch .LBB11_7
.LBB11_78:
	s_endpgm
.LBB11_79:
                                        ; implicit-def: $sgpr2_sgpr3
	s_branch .LBB11_4
	.section	.rodata,"a",@progbits
	.p2align	6, 0x0
	.amdhsa_kernel _ZN2at6native12_GLOBAL__N_143distribution_elementwise_grid_stride_kernelIfLi4EZNS0_9templates4cuda21uniform_and_transformIN3c104HalfEfPNS_17CUDAGeneratorImplEZZZNS4_14uniform_kernelIS9_EEvRNS_18TensorIteratorBaseEddT_ENKUlvE_clEvENKUlvE1_clEvEUlfE_EEvSC_T1_T2_EUlP25hiprandStatePhilox4_32_10E0_ZNS1_27distribution_nullary_kernelIS7_f15HIP_vector_typeIfLj4EES9_SL_SG_EEvSC_SI_RKT3_T4_EUlifE0_EEvlNS_15PhiloxCudaStateESH_SI_
		.amdhsa_group_segment_fixed_size 0
		.amdhsa_private_segment_fixed_size 0
		.amdhsa_kernarg_size 584
		.amdhsa_user_sgpr_count 15
		.amdhsa_user_sgpr_dispatch_ptr 0
		.amdhsa_user_sgpr_queue_ptr 0
		.amdhsa_user_sgpr_kernarg_segment_ptr 1
		.amdhsa_user_sgpr_dispatch_id 0
		.amdhsa_user_sgpr_private_segment_size 0
		.amdhsa_wavefront_size32 1
		.amdhsa_uses_dynamic_stack 0
		.amdhsa_enable_private_segment 0
		.amdhsa_system_sgpr_workgroup_id_x 1
		.amdhsa_system_sgpr_workgroup_id_y 0
		.amdhsa_system_sgpr_workgroup_id_z 0
		.amdhsa_system_sgpr_workgroup_info 0
		.amdhsa_system_vgpr_workitem_id 0
		.amdhsa_next_free_vgpr 45
		.amdhsa_next_free_sgpr 56
		.amdhsa_reserve_vcc 1
		.amdhsa_float_round_mode_32 0
		.amdhsa_float_round_mode_16_64 0
		.amdhsa_float_denorm_mode_32 3
		.amdhsa_float_denorm_mode_16_64 3
		.amdhsa_dx10_clamp 1
		.amdhsa_ieee_mode 1
		.amdhsa_fp16_overflow 0
		.amdhsa_workgroup_processor_mode 1
		.amdhsa_memory_ordered 1
		.amdhsa_forward_progress 0
		.amdhsa_shared_vgpr_count 0
		.amdhsa_exception_fp_ieee_invalid_op 0
		.amdhsa_exception_fp_denorm_src 0
		.amdhsa_exception_fp_ieee_div_zero 0
		.amdhsa_exception_fp_ieee_overflow 0
		.amdhsa_exception_fp_ieee_underflow 0
		.amdhsa_exception_fp_ieee_inexact 0
		.amdhsa_exception_int_div_zero 0
	.end_amdhsa_kernel
	.section	.text._ZN2at6native12_GLOBAL__N_143distribution_elementwise_grid_stride_kernelIfLi4EZNS0_9templates4cuda21uniform_and_transformIN3c104HalfEfPNS_17CUDAGeneratorImplEZZZNS4_14uniform_kernelIS9_EEvRNS_18TensorIteratorBaseEddT_ENKUlvE_clEvENKUlvE1_clEvEUlfE_EEvSC_T1_T2_EUlP25hiprandStatePhilox4_32_10E0_ZNS1_27distribution_nullary_kernelIS7_f15HIP_vector_typeIfLj4EES9_SL_SG_EEvSC_SI_RKT3_T4_EUlifE0_EEvlNS_15PhiloxCudaStateESH_SI_,"axG",@progbits,_ZN2at6native12_GLOBAL__N_143distribution_elementwise_grid_stride_kernelIfLi4EZNS0_9templates4cuda21uniform_and_transformIN3c104HalfEfPNS_17CUDAGeneratorImplEZZZNS4_14uniform_kernelIS9_EEvRNS_18TensorIteratorBaseEddT_ENKUlvE_clEvENKUlvE1_clEvEUlfE_EEvSC_T1_T2_EUlP25hiprandStatePhilox4_32_10E0_ZNS1_27distribution_nullary_kernelIS7_f15HIP_vector_typeIfLj4EES9_SL_SG_EEvSC_SI_RKT3_T4_EUlifE0_EEvlNS_15PhiloxCudaStateESH_SI_,comdat
.Lfunc_end11:
	.size	_ZN2at6native12_GLOBAL__N_143distribution_elementwise_grid_stride_kernelIfLi4EZNS0_9templates4cuda21uniform_and_transformIN3c104HalfEfPNS_17CUDAGeneratorImplEZZZNS4_14uniform_kernelIS9_EEvRNS_18TensorIteratorBaseEddT_ENKUlvE_clEvENKUlvE1_clEvEUlfE_EEvSC_T1_T2_EUlP25hiprandStatePhilox4_32_10E0_ZNS1_27distribution_nullary_kernelIS7_f15HIP_vector_typeIfLj4EES9_SL_SG_EEvSC_SI_RKT3_T4_EUlifE0_EEvlNS_15PhiloxCudaStateESH_SI_, .Lfunc_end11-_ZN2at6native12_GLOBAL__N_143distribution_elementwise_grid_stride_kernelIfLi4EZNS0_9templates4cuda21uniform_and_transformIN3c104HalfEfPNS_17CUDAGeneratorImplEZZZNS4_14uniform_kernelIS9_EEvRNS_18TensorIteratorBaseEddT_ENKUlvE_clEvENKUlvE1_clEvEUlfE_EEvSC_T1_T2_EUlP25hiprandStatePhilox4_32_10E0_ZNS1_27distribution_nullary_kernelIS7_f15HIP_vector_typeIfLj4EES9_SL_SG_EEvSC_SI_RKT3_T4_EUlifE0_EEvlNS_15PhiloxCudaStateESH_SI_
                                        ; -- End function
	.section	.AMDGPU.csdata,"",@progbits
; Kernel info:
; codeLenInByte = 5308
; NumSgprs: 58
; NumVgprs: 45
; ScratchSize: 0
; MemoryBound: 0
; FloatMode: 240
; IeeeMode: 1
; LDSByteSize: 0 bytes/workgroup (compile time only)
; SGPRBlocks: 7
; VGPRBlocks: 5
; NumSGPRsForWavesPerEU: 58
; NumVGPRsForWavesPerEU: 45
; Occupancy: 16
; WaveLimiterHint : 1
; COMPUTE_PGM_RSRC2:SCRATCH_EN: 0
; COMPUTE_PGM_RSRC2:USER_SGPR: 15
; COMPUTE_PGM_RSRC2:TRAP_HANDLER: 0
; COMPUTE_PGM_RSRC2:TGID_X_EN: 1
; COMPUTE_PGM_RSRC2:TGID_Y_EN: 0
; COMPUTE_PGM_RSRC2:TGID_Z_EN: 0
; COMPUTE_PGM_RSRC2:TIDIG_COMP_CNT: 0
	.section	.text._ZN2at6native12_GLOBAL__N_143distribution_elementwise_grid_stride_kernelIfLi4EZNS0_9templates4cuda21uniform_and_transformIN3c108BFloat16EfPNS_17CUDAGeneratorImplEZZZNS4_14uniform_kernelIS9_EEvRNS_18TensorIteratorBaseEddT_ENKUlvE_clEvENKUlvE2_clEvEUlfE_EEvSC_T1_T2_EUlP25hiprandStatePhilox4_32_10E_ZNS1_27distribution_nullary_kernelIS7_f15HIP_vector_typeIdLj2EES9_SL_SG_EEvSC_SI_RKT3_T4_EUlifE_EEvlNS_15PhiloxCudaStateESH_SI_,"axG",@progbits,_ZN2at6native12_GLOBAL__N_143distribution_elementwise_grid_stride_kernelIfLi4EZNS0_9templates4cuda21uniform_and_transformIN3c108BFloat16EfPNS_17CUDAGeneratorImplEZZZNS4_14uniform_kernelIS9_EEvRNS_18TensorIteratorBaseEddT_ENKUlvE_clEvENKUlvE2_clEvEUlfE_EEvSC_T1_T2_EUlP25hiprandStatePhilox4_32_10E_ZNS1_27distribution_nullary_kernelIS7_f15HIP_vector_typeIdLj2EES9_SL_SG_EEvSC_SI_RKT3_T4_EUlifE_EEvlNS_15PhiloxCudaStateESH_SI_,comdat
	.globl	_ZN2at6native12_GLOBAL__N_143distribution_elementwise_grid_stride_kernelIfLi4EZNS0_9templates4cuda21uniform_and_transformIN3c108BFloat16EfPNS_17CUDAGeneratorImplEZZZNS4_14uniform_kernelIS9_EEvRNS_18TensorIteratorBaseEddT_ENKUlvE_clEvENKUlvE2_clEvEUlfE_EEvSC_T1_T2_EUlP25hiprandStatePhilox4_32_10E_ZNS1_27distribution_nullary_kernelIS7_f15HIP_vector_typeIdLj2EES9_SL_SG_EEvSC_SI_RKT3_T4_EUlifE_EEvlNS_15PhiloxCudaStateESH_SI_ ; -- Begin function _ZN2at6native12_GLOBAL__N_143distribution_elementwise_grid_stride_kernelIfLi4EZNS0_9templates4cuda21uniform_and_transformIN3c108BFloat16EfPNS_17CUDAGeneratorImplEZZZNS4_14uniform_kernelIS9_EEvRNS_18TensorIteratorBaseEddT_ENKUlvE_clEvENKUlvE2_clEvEUlfE_EEvSC_T1_T2_EUlP25hiprandStatePhilox4_32_10E_ZNS1_27distribution_nullary_kernelIS7_f15HIP_vector_typeIdLj2EES9_SL_SG_EEvSC_SI_RKT3_T4_EUlifE_EEvlNS_15PhiloxCudaStateESH_SI_
	.p2align	8
	.type	_ZN2at6native12_GLOBAL__N_143distribution_elementwise_grid_stride_kernelIfLi4EZNS0_9templates4cuda21uniform_and_transformIN3c108BFloat16EfPNS_17CUDAGeneratorImplEZZZNS4_14uniform_kernelIS9_EEvRNS_18TensorIteratorBaseEddT_ENKUlvE_clEvENKUlvE2_clEvEUlfE_EEvSC_T1_T2_EUlP25hiprandStatePhilox4_32_10E_ZNS1_27distribution_nullary_kernelIS7_f15HIP_vector_typeIdLj2EES9_SL_SG_EEvSC_SI_RKT3_T4_EUlifE_EEvlNS_15PhiloxCudaStateESH_SI_,@function
_ZN2at6native12_GLOBAL__N_143distribution_elementwise_grid_stride_kernelIfLi4EZNS0_9templates4cuda21uniform_and_transformIN3c108BFloat16EfPNS_17CUDAGeneratorImplEZZZNS4_14uniform_kernelIS9_EEvRNS_18TensorIteratorBaseEddT_ENKUlvE_clEvENKUlvE2_clEvEUlfE_EEvSC_T1_T2_EUlP25hiprandStatePhilox4_32_10E_ZNS1_27distribution_nullary_kernelIS7_f15HIP_vector_typeIdLj2EES9_SL_SG_EEvSC_SI_RKT3_T4_EUlifE_EEvlNS_15PhiloxCudaStateESH_SI_: ; @_ZN2at6native12_GLOBAL__N_143distribution_elementwise_grid_stride_kernelIfLi4EZNS0_9templates4cuda21uniform_and_transformIN3c108BFloat16EfPNS_17CUDAGeneratorImplEZZZNS4_14uniform_kernelIS9_EEvRNS_18TensorIteratorBaseEddT_ENKUlvE_clEvENKUlvE2_clEvEUlfE_EEvSC_T1_T2_EUlP25hiprandStatePhilox4_32_10E_ZNS1_27distribution_nullary_kernelIS7_f15HIP_vector_typeIdLj2EES9_SL_SG_EEvSC_SI_RKT3_T4_EUlifE_EEvlNS_15PhiloxCudaStateESH_SI_
; %bb.0:
	s_clause 0x2
	s_load_b64 s[8:9], s[0:1], 0x10
	s_load_b128 s[4:7], s[0:1], 0x0
	s_load_b32 s2, s[0:1], 0x20
	s_waitcnt lgkmcnt(0)
	v_dual_mov_b32 v2, s8 :: v_dual_mov_b32 v3, s9
	v_dual_mov_b32 v12, s7 :: v_dual_mov_b32 v11, s6
	s_bitcmp0_b32 s2, 0
	s_mov_b32 s2, 0
	s_cbranch_scc1 .LBB12_2
; %bb.1:
	v_dual_mov_b32 v1, s8 :: v_dual_mov_b32 v2, s9
	v_dual_mov_b32 v4, s6 :: v_dual_mov_b32 v5, s7
	s_load_b64 s[6:7], s[0:1], 0x18
	flat_load_b64 v[2:3], v[1:2]
	flat_load_b64 v[11:12], v[4:5]
	s_waitcnt vmcnt(1) lgkmcnt(0)
	v_add_co_u32 v2, vcc_lo, v2, s6
	v_add_co_ci_u32_e32 v3, vcc_lo, s7, v3, vcc_lo
.LBB12_2:
	s_clause 0x1
	s_load_b32 s3, s[0:1], 0x54
	s_load_b32 s13, s[0:1], 0x48
	s_waitcnt lgkmcnt(0)
	s_and_b32 s12, s3, 0xffff
	s_add_u32 s8, s4, -1
	s_mul_i32 s6, s13, s12
	s_addc_u32 s3, s5, -1
	s_lshl_b32 s7, s6, 2
	s_cmp_lg_u64 s[2:3], 0
	s_cbranch_scc0 .LBB12_23
; %bb.3:
	v_cvt_f32_ubyte0_e32 v1, 0
	v_cvt_f32_u32_e32 v4, s7
	s_sub_u32 s10, 0, s7
	s_subb_u32 s11, 0, 0
	s_delay_alu instid0(VALU_DEP_1) | instskip(NEXT) | instid1(VALU_DEP_1)
	v_fmamk_f32 v1, v1, 0x4f800000, v4
	v_rcp_f32_e32 v1, v1
	s_waitcnt_depctr 0xfff
	v_mul_f32_e32 v1, 0x5f7ffffc, v1
	s_delay_alu instid0(VALU_DEP_1) | instskip(NEXT) | instid1(VALU_DEP_1)
	v_mul_f32_e32 v4, 0x2f800000, v1
	v_trunc_f32_e32 v4, v4
	s_delay_alu instid0(VALU_DEP_1) | instskip(SKIP_1) | instid1(VALU_DEP_2)
	v_fmamk_f32 v1, v4, 0xcf800000, v1
	v_cvt_u32_f32_e32 v4, v4
	v_cvt_u32_f32_e32 v1, v1
	s_delay_alu instid0(VALU_DEP_2) | instskip(NEXT) | instid1(VALU_DEP_2)
	v_readfirstlane_b32 s2, v4
	v_readfirstlane_b32 s9, v1
	s_delay_alu instid0(VALU_DEP_2) | instskip(NEXT) | instid1(VALU_DEP_1)
	s_mul_i32 s14, s10, s2
	s_mul_hi_u32 s17, s10, s9
	s_mul_i32 s16, s11, s9
	s_add_i32 s14, s17, s14
	s_mul_i32 s18, s10, s9
	s_add_i32 s14, s14, s16
	s_mul_hi_u32 s17, s9, s18
	s_mul_hi_u32 s19, s2, s18
	s_mul_i32 s16, s2, s18
	s_mul_hi_u32 s18, s9, s14
	s_mul_i32 s9, s9, s14
	s_mul_hi_u32 s20, s2, s14
	s_add_u32 s9, s17, s9
	s_addc_u32 s17, 0, s18
	s_add_u32 s9, s9, s16
	s_mul_i32 s14, s2, s14
	s_addc_u32 s9, s17, s19
	s_addc_u32 s16, s20, 0
	s_add_u32 s9, s9, s14
	s_addc_u32 s14, 0, s16
	v_add_co_u32 v1, s9, v1, s9
	s_delay_alu instid0(VALU_DEP_1) | instskip(SKIP_1) | instid1(VALU_DEP_1)
	s_cmp_lg_u32 s9, 0
	s_addc_u32 s2, s2, s14
	v_readfirstlane_b32 s9, v1
	s_mul_i32 s14, s10, s2
	s_delay_alu instid0(VALU_DEP_1)
	s_mul_hi_u32 s16, s10, s9
	s_mul_i32 s11, s11, s9
	s_add_i32 s14, s16, s14
	s_mul_i32 s10, s10, s9
	s_add_i32 s14, s14, s11
	s_mul_hi_u32 s16, s2, s10
	s_mul_i32 s17, s2, s10
	s_mul_hi_u32 s10, s9, s10
	s_mul_hi_u32 s18, s9, s14
	s_mul_i32 s9, s9, s14
	s_mul_hi_u32 s11, s2, s14
	s_add_u32 s9, s10, s9
	s_addc_u32 s10, 0, s18
	s_add_u32 s9, s9, s17
	s_mul_i32 s14, s2, s14
	s_addc_u32 s9, s10, s16
	s_addc_u32 s10, s11, 0
	s_add_u32 s9, s9, s14
	s_addc_u32 s10, 0, s10
	v_add_co_u32 v1, s9, v1, s9
	s_delay_alu instid0(VALU_DEP_1) | instskip(SKIP_2) | instid1(VALU_DEP_1)
	s_cmp_lg_u32 s9, 0
	s_addc_u32 s9, s2, s10
	s_ashr_i32 s10, s3, 31
	v_readfirstlane_b32 s14, v1
	s_add_u32 s2, s8, s10
	s_mov_b32 s11, s10
	s_addc_u32 s3, s3, s10
	s_delay_alu instid0(SALU_CYCLE_1) | instskip(NEXT) | instid1(SALU_CYCLE_1)
	s_xor_b64 s[2:3], s[2:3], s[10:11]
	s_mul_i32 s17, s2, s9
	s_mul_hi_u32 s18, s2, s14
	s_mul_hi_u32 s16, s2, s9
	;; [unrolled: 1-line block ×3, first 2 shown]
	s_mul_i32 s14, s3, s14
	s_add_u32 s17, s18, s17
	s_addc_u32 s16, 0, s16
	s_mul_hi_u32 s19, s3, s9
	s_add_u32 s14, s17, s14
	s_mul_i32 s9, s3, s9
	s_addc_u32 s14, s16, s20
	s_addc_u32 s16, s19, 0
	s_add_u32 s9, s14, s9
	s_addc_u32 s14, 0, s16
	s_mul_i32 s17, s7, s9
	s_add_u32 s16, s9, 1
	v_sub_co_u32 v1, s2, s2, s17
	s_mul_hi_u32 s17, s7, s9
	s_addc_u32 s18, s14, 0
	s_mul_i32 s19, s7, s14
	s_delay_alu instid0(VALU_DEP_1)
	v_sub_co_u32 v4, s20, v1, s7
	s_add_u32 s21, s9, 2
	s_addc_u32 s22, s14, 0
	s_add_i32 s17, s17, s19
	s_cmp_lg_u32 s2, 0
	v_readfirstlane_b32 s2, v4
	s_subb_u32 s3, s3, s17
	s_cmp_lg_u32 s20, 0
	s_subb_u32 s17, s3, 0
	s_delay_alu instid0(VALU_DEP_1) | instskip(SKIP_4) | instid1(SALU_CYCLE_1)
	s_cmp_ge_u32 s2, s7
	s_cselect_b32 s2, -1, 0
	s_cmp_eq_u32 s17, 0
	v_readfirstlane_b32 s17, v1
	s_cselect_b32 s2, s2, -1
	s_cmp_lg_u32 s2, 0
	s_cselect_b32 s2, s21, s16
	s_cselect_b32 s16, s22, s18
	s_cmp_ge_u32 s17, s7
	s_cselect_b32 s17, -1, 0
	s_cmp_eq_u32 s3, 0
	s_cselect_b32 s3, s17, -1
	s_delay_alu instid0(SALU_CYCLE_1) | instskip(SKIP_2) | instid1(SALU_CYCLE_1)
	s_cmp_lg_u32 s3, 0
	s_cselect_b32 s3, s16, s14
	s_cselect_b32 s2, s2, s9
	s_xor_b64 s[2:3], s[2:3], s[10:11]
	s_delay_alu instid0(SALU_CYCLE_1)
	s_sub_u32 s2, s2, s10
	s_subb_u32 s3, s3, s10
	s_cbranch_execnz .LBB12_5
.LBB12_4:
	v_cvt_f32_u32_e32 v1, s7
	s_sub_i32 s3, 0, s7
	s_delay_alu instid0(VALU_DEP_1) | instskip(SKIP_2) | instid1(VALU_DEP_1)
	v_rcp_iflag_f32_e32 v1, v1
	s_waitcnt_depctr 0xfff
	v_mul_f32_e32 v1, 0x4f7ffffe, v1
	v_cvt_u32_f32_e32 v1, v1
	s_delay_alu instid0(VALU_DEP_1) | instskip(NEXT) | instid1(VALU_DEP_1)
	v_readfirstlane_b32 s2, v1
	s_mul_i32 s3, s3, s2
	s_delay_alu instid0(SALU_CYCLE_1) | instskip(NEXT) | instid1(SALU_CYCLE_1)
	s_mul_hi_u32 s3, s2, s3
	s_add_i32 s2, s2, s3
	s_delay_alu instid0(SALU_CYCLE_1) | instskip(NEXT) | instid1(SALU_CYCLE_1)
	s_mul_hi_u32 s2, s8, s2
	s_mul_i32 s3, s2, s7
	s_delay_alu instid0(SALU_CYCLE_1)
	s_sub_i32 s3, s8, s3
	s_add_i32 s8, s2, 1
	s_sub_i32 s9, s3, s7
	s_cmp_ge_u32 s3, s7
	s_cselect_b32 s2, s8, s2
	s_cselect_b32 s3, s9, s3
	s_add_i32 s8, s2, 1
	s_cmp_ge_u32 s3, s7
	s_mov_b32 s3, 0
	s_cselect_b32 s2, s8, s2
.LBB12_5:
	v_mov_b32_e32 v1, 0
	s_add_u32 s2, s2, 1
	s_addc_u32 s3, s3, 0
	s_mul_hi_u32 s8, s6, s2
	s_mul_i32 s3, s6, s3
	v_mad_u64_u32 v[13:14], null, s12, s15, v[0:1]
	s_mul_hi_u32 s9, s13, s12
	s_add_i32 s3, s8, s3
	s_mul_i32 s9, s9, s2
	s_mul_i32 s2, s6, s2
	s_add_i32 s3, s3, s9
	s_mov_b32 s8, exec_lo
	s_lshl_b64 s[2:3], s[2:3], 2
	s_delay_alu instid0(SALU_CYCLE_1)
	v_cmpx_gt_i64_e64 s[2:3], v[13:14]
	s_cbranch_execz .LBB12_22
; %bb.6:
	v_alignbit_b32 v17, v3, v2, 2
	v_mad_u64_u32 v[6:7], null, 0xcd9e8d57, v13, 0
	v_lshrrev_b32_e32 v18, 2, v3
	s_waitcnt vmcnt(0)
	v_dual_mov_b32 v15, v12 :: v_dual_add_nc_u32 v34, 0x8ff34781, v11
	v_mad_u64_u32 v[4:5], null, 0xd2511f53, v17, 0
	v_add_co_u32 v20, null, 0x9e3779b9, v11
	v_xor3_b32 v3, v11, v7, v18
	s_delay_alu instid0(VALU_DEP_4) | instskip(SKIP_2) | instid1(VALU_DEP_4)
	v_add_co_u32 v19, null, 0xbb67ae85, v15
	v_add_co_u32 v21, null, 0x3c6ef372, v11
	v_xor_b32_e32 v1, v5, v12
	v_mad_u64_u32 v[7:8], null, 0xd2511f53, v3, 0
	v_add_co_u32 v22, null, 0x76cf5d0a, v15
	s_delay_alu instid0(VALU_DEP_3) | instskip(SKIP_2) | instid1(VALU_DEP_3)
	v_xor_b32_e32 v1, v1, v14
	v_add_co_u32 v23, null, 0x32370b8f, v15
	v_add_co_u32 v24, null, 0xdaa66d2b, v11
	v_mad_u64_u32 v[9:10], null, 0xcd9e8d57, v1, 0
	v_xor3_b32 v1, v19, v8, v4
	v_add_co_u32 v25, null, 0x78dde6e4, v11
	v_add_co_u32 v26, null, 0xed9eba14, v15
	s_delay_alu instid0(VALU_DEP_3) | instskip(SKIP_3) | instid1(VALU_DEP_3)
	v_mad_u64_u32 v[3:4], null, 0xcd9e8d57, v1, 0
	v_xor3_b32 v8, v20, v10, v6
	v_add_co_u32 v27, null, 0xa9066899, v15
	v_add_co_u32 v28, null, 0x1715609d, v11
	v_mad_u64_u32 v[5:6], null, 0xd2511f53, v8, 0
	v_xor3_b32 v1, v21, v4, v9
	v_add_co_u32 v29, null, 0xb54cda56, v11
	v_add_co_u32 v30, null, 0x646e171e, v15
	;; [unrolled: 1-line block ×3, first 2 shown]
	v_xor3_b32 v4, v22, v6, v7
	v_mad_u64_u32 v[6:7], null, 0xd2511f53, v1, 0
	v_add_co_u32 v32, null, 0x5384540f, v11
	s_delay_alu instid0(VALU_DEP_3) | instskip(SKIP_1) | instid1(VALU_DEP_4)
	v_mad_u64_u32 v[8:9], null, 0xcd9e8d57, v4, 0
	v_dual_mov_b32 v38, v13 :: v_dual_and_b32 v33, 3, v2
	v_xor3_b32 v1, v23, v7, v5
	s_clause 0x1
	s_load_b128 s[8:11], s[0:1], 0x30
	s_load_b32 s16, s[0:1], 0x40
	v_add_co_u32 v36, null, 0xf1bbcdc8, v11
	s_delay_alu instid0(VALU_DEP_4) | instskip(SKIP_2) | instid1(VALU_DEP_3)
	v_xor3_b32 v5, v24, v9, v3
	v_mad_u64_u32 v[3:4], null, 0xcd9e8d57, v1, 0
	v_add_co_u32 v37, null, 0xdb3d7428, v15
	v_mad_u64_u32 v[9:10], null, 0xd2511f53, v5, 0
	v_add_nc_u32_e32 v35, 0x96a522ad, v12
	v_mov_b32_e32 v41, v14
	v_xor3_b32 v1, v25, v4, v8
	s_mov_b32 s0, 0
	s_delay_alu instid0(VALU_DEP_4) | instskip(NEXT) | instid1(VALU_DEP_2)
	v_xor3_b32 v8, v26, v10, v6
	v_mad_u64_u32 v[4:5], null, 0xd2511f53, v1, 0
	s_waitcnt lgkmcnt(0)
	s_and_b32 s1, s16, 0xffff
	s_delay_alu instid0(VALU_DEP_2) | instskip(SKIP_1) | instid1(VALU_DEP_2)
	v_mad_u64_u32 v[6:7], null, 0xcd9e8d57, v8, 0
	s_lshl_b32 s14, s16, 16
	v_xor3_b32 v1, v27, v5, v9
	s_delay_alu instid0(VALU_DEP_2) | instskip(NEXT) | instid1(VALU_DEP_2)
	v_xor3_b32 v3, v28, v7, v3
	v_mad_u64_u32 v[7:8], null, 0xcd9e8d57, v1, 0
	s_delay_alu instid0(VALU_DEP_2) | instskip(NEXT) | instid1(VALU_DEP_2)
	v_mad_u64_u32 v[9:10], null, 0xd2511f53, v3, 0
	v_xor3_b32 v1, v29, v8, v6
	s_delay_alu instid0(VALU_DEP_2) | instskip(NEXT) | instid1(VALU_DEP_2)
	v_xor3_b32 v8, v30, v10, v4
	v_mad_u64_u32 v[3:4], null, 0xd2511f53, v1, 0
	s_delay_alu instid0(VALU_DEP_2) | instskip(NEXT) | instid1(VALU_DEP_2)
	v_mad_u64_u32 v[5:6], null, 0xcd9e8d57, v8, 0
	v_xor3_b32 v1, v31, v4, v9
	s_delay_alu instid0(VALU_DEP_2) | instskip(NEXT) | instid1(VALU_DEP_2)
	v_xor3_b32 v2, v32, v6, v7
	v_mad_u64_u32 v[6:7], null, 0xcd9e8d57, v1, 0
	v_mad_u64_u32 v[15:16], null, s15, s12, v[0:1]
	s_delay_alu instid0(VALU_DEP_3) | instskip(SKIP_2) | instid1(VALU_DEP_3)
	v_mad_u64_u32 v[8:9], null, 0xd2511f53, v2, 0
	s_add_i32 s15, s15, s13
	s_mul_i32 s13, s13, s10
	v_xor3_b32 v1, v36, v7, v5
	s_mul_i32 s13, s13, s12
	s_delay_alu instid0(VALU_DEP_3) | instskip(NEXT) | instid1(VALU_DEP_3)
	v_mul_lo_u32 v39, s10, v15
	v_xor3_b32 v7, v37, v9, v3
	s_delay_alu instid0(VALU_DEP_3) | instskip(SKIP_1) | instid1(VALU_DEP_3)
	v_mad_u64_u32 v[3:4], null, s15, s12, v[0:1]
	v_mad_u64_u32 v[4:5], null, 0xd2511f53, v1, 0
	;; [unrolled: 1-line block ×3, first 2 shown]
	s_lshl_b32 s12, s13, 2
	s_mov_b32 s13, 0
	s_delay_alu instid0(VALU_DEP_3) | instskip(SKIP_1) | instid1(VALU_DEP_3)
	v_mul_lo_u32 v40, s10, v3
	s_pack_lh_b32_b16 s10, 0, s16
	v_mov_b32_e32 v3, v4
	s_delay_alu instid0(VALU_DEP_3)
	v_xor3_b32 v0, v2, v6, v34
	v_xor3_b32 v2, v5, v8, v35
	s_branch .LBB12_8
.LBB12_7:                               ;   in Loop: Header=BB12_8 Depth=1
	s_or_b32 exec_lo, exec_lo, s15
	v_add_co_u32 v13, vcc_lo, v13, s7
	v_add_co_ci_u32_e32 v14, vcc_lo, 0, v14, vcc_lo
	v_mov_b32_e32 v7, v15
	v_dual_mov_b32 v0, v4 :: v_dual_mov_b32 v1, v5
	s_delay_alu instid0(VALU_DEP_3) | instskip(NEXT) | instid1(VALU_DEP_3)
	v_cmp_le_i64_e32 vcc_lo, s[2:3], v[13:14]
	v_dual_mov_b32 v2, v6 :: v_dual_mov_b32 v3, v7
	s_add_i32 s13, s13, s12
	s_waitcnt_vscnt null, 0x0
	s_barrier
	s_or_b32 s0, vcc_lo, s0
	buffer_gl0_inv
	s_and_not1_b32 exec_lo, exec_lo, s0
	s_cbranch_execz .LBB12_22
.LBB12_8:                               ; =>This Inner Loop Header: Depth=1
	v_add_co_u32 v17, vcc_lo, v17, 1
	s_delay_alu instid0(VALU_DEP_1) | instskip(SKIP_2) | instid1(VALU_DEP_1)
	v_cndmask_b32_e64 v4, 0, 1, vcc_lo
	v_add_co_ci_u32_e32 v18, vcc_lo, 0, v18, vcc_lo
	s_mov_b32 s15, exec_lo
	v_cmp_eq_u32_e32 vcc_lo, 0, v18
	s_delay_alu instid0(VALU_DEP_3) | instskip(NEXT) | instid1(VALU_DEP_1)
	v_cndmask_b32_e32 v4, 0, v4, vcc_lo
	v_add_nc_u32_e32 v38, v4, v38
	s_delay_alu instid0(VALU_DEP_1) | instskip(SKIP_2) | instid1(VALU_DEP_2)
	v_cmp_eq_u32_e32 vcc_lo, 0, v38
	v_mad_u64_u32 v[6:7], null, 0xcd9e8d57, v38, 0
	v_cndmask_b32_e32 v4, 0, v4, vcc_lo
	v_xor3_b32 v9, v7, v11, v18
	s_delay_alu instid0(VALU_DEP_2) | instskip(SKIP_1) | instid1(VALU_DEP_3)
	v_add_nc_u32_e32 v41, v4, v41
	v_mad_u64_u32 v[4:5], null, 0xd2511f53, v17, 0
	v_mad_u64_u32 v[7:8], null, 0xd2511f53, v9, 0
	s_delay_alu instid0(VALU_DEP_2) | instskip(NEXT) | instid1(VALU_DEP_2)
	v_xor_b32_e32 v5, v5, v12
	v_xor3_b32 v8, v19, v8, v4
	s_delay_alu instid0(VALU_DEP_2) | instskip(NEXT) | instid1(VALU_DEP_1)
	v_xor_b32_e32 v5, v41, v5
	v_mad_u64_u32 v[9:10], null, 0xcd9e8d57, v5, 0
	s_delay_alu instid0(VALU_DEP_3) | instskip(NEXT) | instid1(VALU_DEP_2)
	v_mad_u64_u32 v[4:5], null, 0xcd9e8d57, v8, 0
	v_xor3_b32 v6, v20, v10, v6
	s_delay_alu instid0(VALU_DEP_2) | instskip(NEXT) | instid1(VALU_DEP_2)
	v_xor3_b32 v8, v21, v5, v9
	v_mad_u64_u32 v[15:16], null, 0xd2511f53, v6, 0
	s_delay_alu instid0(VALU_DEP_2) | instskip(NEXT) | instid1(VALU_DEP_2)
	v_mad_u64_u32 v[5:6], null, 0xd2511f53, v8, 0
	v_xor3_b32 v9, v22, v16, v7
	s_delay_alu instid0(VALU_DEP_2) | instskip(NEXT) | instid1(VALU_DEP_2)
	v_xor3_b32 v6, v23, v6, v15
	v_mad_u64_u32 v[7:8], null, 0xcd9e8d57, v9, 0
	s_delay_alu instid0(VALU_DEP_1) | instskip(NEXT) | instid1(VALU_DEP_3)
	v_xor3_b32 v4, v24, v8, v4
	v_mad_u64_u32 v[8:9], null, 0xcd9e8d57, v6, 0
	s_delay_alu instid0(VALU_DEP_2) | instskip(NEXT) | instid1(VALU_DEP_2)
	v_mad_u64_u32 v[15:16], null, 0xd2511f53, v4, 0
	v_xor3_b32 v6, v25, v9, v7
	s_delay_alu instid0(VALU_DEP_2) | instskip(NEXT) | instid1(VALU_DEP_2)
	v_xor3_b32 v9, v26, v16, v5
	v_mad_u64_u32 v[4:5], null, 0xd2511f53, v6, 0
	s_delay_alu instid0(VALU_DEP_2) | instskip(NEXT) | instid1(VALU_DEP_2)
	v_mad_u64_u32 v[6:7], null, 0xcd9e8d57, v9, 0
	v_xor3_b32 v5, v27, v5, v15
	s_delay_alu instid0(VALU_DEP_2) | instskip(NEXT) | instid1(VALU_DEP_2)
	;; [unrolled: 6-line block ×6, first 2 shown]
	v_xor3_b32 v4, v6, v7, v34
	v_mov_b32_e32 v6, v10
	v_cmpx_lt_i32_e32 1, v33
	s_xor_b32 s15, exec_lo, s15
	s_cbranch_execnz .LBB12_14
; %bb.9:                                ;   in Loop: Header=BB12_8 Depth=1
	s_and_not1_saveexec_b32 s15, s15
	s_cbranch_execnz .LBB12_19
.LBB12_10:                              ;   in Loop: Header=BB12_8 Depth=1
	s_or_b32 exec_lo, exec_lo, s15
	s_delay_alu instid0(SALU_CYCLE_1)
	s_mov_b32 s15, exec_lo
	v_cmpx_gt_i64_e64 s[4:5], v[13:14]
	s_cbranch_execz .LBB12_12
.LBB12_11:                              ;   in Loop: Header=BB12_8 Depth=1
	v_lshrrev_b32_e32 v1, 11, v1
	s_delay_alu instid0(VALU_DEP_1) | instskip(SKIP_1) | instid1(VALU_DEP_2)
	v_cvt_f64_u32_e32 v[7:8], v1
	v_cvt_f64_u32_e32 v[0:1], v0
	v_ldexp_f64 v[7:8], v[7:8], 32
	s_delay_alu instid0(VALU_DEP_1) | instskip(SKIP_1) | instid1(VALU_DEP_2)
	v_add_f64 v[0:1], v[7:8], v[0:1]
	v_add_nc_u32_e32 v7, s13, v39
	v_fma_f64 v[0:1], 0x3ca00000, v[0:1], 0x3ca00000
	s_delay_alu instid0(VALU_DEP_1) | instskip(NEXT) | instid1(VALU_DEP_1)
	v_cvt_f32_f64_e32 v0, v[0:1]
	v_fma_f32 v0, s11, v0, s14
	s_delay_alu instid0(VALU_DEP_1) | instskip(SKIP_1) | instid1(VALU_DEP_2)
	v_bfe_u32 v1, v0, 16, 1
	v_cmp_o_f32_e32 vcc_lo, v0, v0
	v_add3_u32 v1, v0, v1, 0x7fff
	s_delay_alu instid0(VALU_DEP_1) | instskip(NEXT) | instid1(VALU_DEP_1)
	v_lshrrev_b32_e32 v1, 16, v1
	v_cndmask_b32_e32 v8, 0x7fc0, v1, vcc_lo
	v_ashrrev_i32_e32 v1, 31, v7
	v_add_co_u32 v0, vcc_lo, s8, v7
	s_delay_alu instid0(VALU_DEP_3) | instskip(NEXT) | instid1(VALU_DEP_3)
	v_lshlrev_b32_e32 v9, 16, v8
	v_add_co_ci_u32_e32 v1, vcc_lo, s9, v1, vcc_lo
	s_delay_alu instid0(VALU_DEP_2)
	v_cmp_eq_f32_e32 vcc_lo, s10, v9
	v_cndmask_b32_e64 v7, v8, s1, vcc_lo
	global_store_b16 v[0:1], v7, off
.LBB12_12:                              ;   in Loop: Header=BB12_8 Depth=1
	s_or_b32 exec_lo, exec_lo, s15
	v_add_co_u32 v0, vcc_lo, s6, v13
	v_add_co_ci_u32_e32 v1, vcc_lo, 0, v14, vcc_lo
	s_mov_b32 s15, exec_lo
	s_delay_alu instid0(VALU_DEP_1)
	v_cmpx_gt_i64_e64 s[4:5], v[0:1]
	s_cbranch_execz .LBB12_7
; %bb.13:                               ;   in Loop: Header=BB12_8 Depth=1
	v_lshrrev_b32_e32 v0, 11, v3
	v_cvt_f64_u32_e32 v[2:3], v2
	s_delay_alu instid0(VALU_DEP_2) | instskip(NEXT) | instid1(VALU_DEP_1)
	v_cvt_f64_u32_e32 v[0:1], v0
	v_ldexp_f64 v[0:1], v[0:1], 32
	s_delay_alu instid0(VALU_DEP_1) | instskip(SKIP_1) | instid1(VALU_DEP_2)
	v_add_f64 v[0:1], v[0:1], v[2:3]
	v_add_nc_u32_e32 v2, s13, v40
	v_fma_f64 v[0:1], 0x3ca00000, v[0:1], 0x3ca00000
	s_delay_alu instid0(VALU_DEP_1) | instskip(NEXT) | instid1(VALU_DEP_1)
	v_cvt_f32_f64_e32 v0, v[0:1]
	v_fma_f32 v0, s11, v0, s14
	s_delay_alu instid0(VALU_DEP_1) | instskip(SKIP_1) | instid1(VALU_DEP_2)
	v_bfe_u32 v1, v0, 16, 1
	v_cmp_o_f32_e32 vcc_lo, v0, v0
	v_add3_u32 v1, v0, v1, 0x7fff
	s_delay_alu instid0(VALU_DEP_1) | instskip(NEXT) | instid1(VALU_DEP_1)
	v_lshrrev_b32_e32 v1, 16, v1
	v_cndmask_b32_e32 v3, 0x7fc0, v1, vcc_lo
	v_ashrrev_i32_e32 v1, 31, v2
	v_add_co_u32 v0, vcc_lo, s8, v2
	s_delay_alu instid0(VALU_DEP_3) | instskip(NEXT) | instid1(VALU_DEP_3)
	v_lshlrev_b32_e32 v7, 16, v3
	v_add_co_ci_u32_e32 v1, vcc_lo, s9, v1, vcc_lo
	s_delay_alu instid0(VALU_DEP_2)
	v_cmp_eq_f32_e32 vcc_lo, s10, v7
	v_cndmask_b32_e64 v2, v3, s1, vcc_lo
	global_store_b16 v[0:1], v2, off
	s_branch .LBB12_7
.LBB12_14:                              ;   in Loop: Header=BB12_8 Depth=1
	s_mov_b32 s16, exec_lo
	v_cmpx_lt_i32_e32 2, v33
	s_xor_b32 s16, exec_lo, s16
; %bb.15:                               ;   in Loop: Header=BB12_8 Depth=1
	v_dual_mov_b32 v7, v3 :: v_dual_mov_b32 v8, v4
	v_mov_b32_e32 v9, v5
	s_delay_alu instid0(VALU_DEP_2) | instskip(NEXT) | instid1(VALU_DEP_2)
	v_dual_mov_b32 v0, v7 :: v_dual_mov_b32 v1, v8
	v_dual_mov_b32 v2, v9 :: v_dual_mov_b32 v3, v10
; %bb.16:                               ;   in Loop: Header=BB12_8 Depth=1
	s_and_not1_saveexec_b32 s16, s16
; %bb.17:                               ;   in Loop: Header=BB12_8 Depth=1
	s_delay_alu instid0(VALU_DEP_1)
	v_dual_mov_b32 v0, v2 :: v_dual_mov_b32 v1, v3
	v_dual_mov_b32 v2, v4 :: v_dual_mov_b32 v3, v5
; %bb.18:                               ;   in Loop: Header=BB12_8 Depth=1
	s_or_b32 exec_lo, exec_lo, s16
	s_and_not1_saveexec_b32 s15, s15
	s_cbranch_execz .LBB12_10
.LBB12_19:                              ;   in Loop: Header=BB12_8 Depth=1
	s_mov_b32 s16, exec_lo
	v_cmpx_eq_u32_e32 1, v33
; %bb.20:                               ;   in Loop: Header=BB12_8 Depth=1
	v_dual_mov_b32 v0, v1 :: v_dual_mov_b32 v1, v2
	v_dual_mov_b32 v2, v3 :: v_dual_mov_b32 v3, v4
; %bb.21:                               ;   in Loop: Header=BB12_8 Depth=1
	s_or_b32 exec_lo, exec_lo, s16
	s_delay_alu instid0(SALU_CYCLE_1) | instskip(NEXT) | instid1(SALU_CYCLE_1)
	s_or_b32 exec_lo, exec_lo, s15
	s_mov_b32 s15, exec_lo
	v_cmpx_gt_i64_e64 s[4:5], v[13:14]
	s_cbranch_execnz .LBB12_11
	s_branch .LBB12_12
.LBB12_22:
	s_endpgm
.LBB12_23:
                                        ; implicit-def: $sgpr2_sgpr3
	s_branch .LBB12_4
	.section	.rodata,"a",@progbits
	.p2align	6, 0x0
	.amdhsa_kernel _ZN2at6native12_GLOBAL__N_143distribution_elementwise_grid_stride_kernelIfLi4EZNS0_9templates4cuda21uniform_and_transformIN3c108BFloat16EfPNS_17CUDAGeneratorImplEZZZNS4_14uniform_kernelIS9_EEvRNS_18TensorIteratorBaseEddT_ENKUlvE_clEvENKUlvE2_clEvEUlfE_EEvSC_T1_T2_EUlP25hiprandStatePhilox4_32_10E_ZNS1_27distribution_nullary_kernelIS7_f15HIP_vector_typeIdLj2EES9_SL_SG_EEvSC_SI_RKT3_T4_EUlifE_EEvlNS_15PhiloxCudaStateESH_SI_
		.amdhsa_group_segment_fixed_size 0
		.amdhsa_private_segment_fixed_size 0
		.amdhsa_kernarg_size 328
		.amdhsa_user_sgpr_count 15
		.amdhsa_user_sgpr_dispatch_ptr 0
		.amdhsa_user_sgpr_queue_ptr 0
		.amdhsa_user_sgpr_kernarg_segment_ptr 1
		.amdhsa_user_sgpr_dispatch_id 0
		.amdhsa_user_sgpr_private_segment_size 0
		.amdhsa_wavefront_size32 1
		.amdhsa_uses_dynamic_stack 0
		.amdhsa_enable_private_segment 0
		.amdhsa_system_sgpr_workgroup_id_x 1
		.amdhsa_system_sgpr_workgroup_id_y 0
		.amdhsa_system_sgpr_workgroup_id_z 0
		.amdhsa_system_sgpr_workgroup_info 0
		.amdhsa_system_vgpr_workitem_id 0
		.amdhsa_next_free_vgpr 42
		.amdhsa_next_free_sgpr 23
		.amdhsa_reserve_vcc 1
		.amdhsa_float_round_mode_32 0
		.amdhsa_float_round_mode_16_64 0
		.amdhsa_float_denorm_mode_32 3
		.amdhsa_float_denorm_mode_16_64 3
		.amdhsa_dx10_clamp 1
		.amdhsa_ieee_mode 1
		.amdhsa_fp16_overflow 0
		.amdhsa_workgroup_processor_mode 1
		.amdhsa_memory_ordered 1
		.amdhsa_forward_progress 0
		.amdhsa_shared_vgpr_count 0
		.amdhsa_exception_fp_ieee_invalid_op 0
		.amdhsa_exception_fp_denorm_src 0
		.amdhsa_exception_fp_ieee_div_zero 0
		.amdhsa_exception_fp_ieee_overflow 0
		.amdhsa_exception_fp_ieee_underflow 0
		.amdhsa_exception_fp_ieee_inexact 0
		.amdhsa_exception_int_div_zero 0
	.end_amdhsa_kernel
	.section	.text._ZN2at6native12_GLOBAL__N_143distribution_elementwise_grid_stride_kernelIfLi4EZNS0_9templates4cuda21uniform_and_transformIN3c108BFloat16EfPNS_17CUDAGeneratorImplEZZZNS4_14uniform_kernelIS9_EEvRNS_18TensorIteratorBaseEddT_ENKUlvE_clEvENKUlvE2_clEvEUlfE_EEvSC_T1_T2_EUlP25hiprandStatePhilox4_32_10E_ZNS1_27distribution_nullary_kernelIS7_f15HIP_vector_typeIdLj2EES9_SL_SG_EEvSC_SI_RKT3_T4_EUlifE_EEvlNS_15PhiloxCudaStateESH_SI_,"axG",@progbits,_ZN2at6native12_GLOBAL__N_143distribution_elementwise_grid_stride_kernelIfLi4EZNS0_9templates4cuda21uniform_and_transformIN3c108BFloat16EfPNS_17CUDAGeneratorImplEZZZNS4_14uniform_kernelIS9_EEvRNS_18TensorIteratorBaseEddT_ENKUlvE_clEvENKUlvE2_clEvEUlfE_EEvSC_T1_T2_EUlP25hiprandStatePhilox4_32_10E_ZNS1_27distribution_nullary_kernelIS7_f15HIP_vector_typeIdLj2EES9_SL_SG_EEvSC_SI_RKT3_T4_EUlifE_EEvlNS_15PhiloxCudaStateESH_SI_,comdat
.Lfunc_end12:
	.size	_ZN2at6native12_GLOBAL__N_143distribution_elementwise_grid_stride_kernelIfLi4EZNS0_9templates4cuda21uniform_and_transformIN3c108BFloat16EfPNS_17CUDAGeneratorImplEZZZNS4_14uniform_kernelIS9_EEvRNS_18TensorIteratorBaseEddT_ENKUlvE_clEvENKUlvE2_clEvEUlfE_EEvSC_T1_T2_EUlP25hiprandStatePhilox4_32_10E_ZNS1_27distribution_nullary_kernelIS7_f15HIP_vector_typeIdLj2EES9_SL_SG_EEvSC_SI_RKT3_T4_EUlifE_EEvlNS_15PhiloxCudaStateESH_SI_, .Lfunc_end12-_ZN2at6native12_GLOBAL__N_143distribution_elementwise_grid_stride_kernelIfLi4EZNS0_9templates4cuda21uniform_and_transformIN3c108BFloat16EfPNS_17CUDAGeneratorImplEZZZNS4_14uniform_kernelIS9_EEvRNS_18TensorIteratorBaseEddT_ENKUlvE_clEvENKUlvE2_clEvEUlfE_EEvSC_T1_T2_EUlP25hiprandStatePhilox4_32_10E_ZNS1_27distribution_nullary_kernelIS7_f15HIP_vector_typeIdLj2EES9_SL_SG_EEvSC_SI_RKT3_T4_EUlifE_EEvlNS_15PhiloxCudaStateESH_SI_
                                        ; -- End function
	.section	.AMDGPU.csdata,"",@progbits
; Kernel info:
; codeLenInByte = 2884
; NumSgprs: 25
; NumVgprs: 42
; ScratchSize: 0
; MemoryBound: 0
; FloatMode: 240
; IeeeMode: 1
; LDSByteSize: 0 bytes/workgroup (compile time only)
; SGPRBlocks: 3
; VGPRBlocks: 5
; NumSGPRsForWavesPerEU: 25
; NumVGPRsForWavesPerEU: 42
; Occupancy: 16
; WaveLimiterHint : 0
; COMPUTE_PGM_RSRC2:SCRATCH_EN: 0
; COMPUTE_PGM_RSRC2:USER_SGPR: 15
; COMPUTE_PGM_RSRC2:TRAP_HANDLER: 0
; COMPUTE_PGM_RSRC2:TGID_X_EN: 1
; COMPUTE_PGM_RSRC2:TGID_Y_EN: 0
; COMPUTE_PGM_RSRC2:TGID_Z_EN: 0
; COMPUTE_PGM_RSRC2:TIDIG_COMP_CNT: 0
	.section	.text._ZN2at6native12_GLOBAL__N_143distribution_elementwise_grid_stride_kernelIfLi4EZNS0_9templates4cuda21uniform_and_transformIN3c108BFloat16EfPNS_17CUDAGeneratorImplEZZZNS4_14uniform_kernelIS9_EEvRNS_18TensorIteratorBaseEddT_ENKUlvE_clEvENKUlvE2_clEvEUlfE_EEvSC_T1_T2_EUlP25hiprandStatePhilox4_32_10E_ZNS1_27distribution_nullary_kernelIS7_f15HIP_vector_typeIdLj2EES9_SL_SG_EEvSC_SI_RKT3_T4_EUlifE0_EEvlNS_15PhiloxCudaStateESH_SI_,"axG",@progbits,_ZN2at6native12_GLOBAL__N_143distribution_elementwise_grid_stride_kernelIfLi4EZNS0_9templates4cuda21uniform_and_transformIN3c108BFloat16EfPNS_17CUDAGeneratorImplEZZZNS4_14uniform_kernelIS9_EEvRNS_18TensorIteratorBaseEddT_ENKUlvE_clEvENKUlvE2_clEvEUlfE_EEvSC_T1_T2_EUlP25hiprandStatePhilox4_32_10E_ZNS1_27distribution_nullary_kernelIS7_f15HIP_vector_typeIdLj2EES9_SL_SG_EEvSC_SI_RKT3_T4_EUlifE0_EEvlNS_15PhiloxCudaStateESH_SI_,comdat
	.globl	_ZN2at6native12_GLOBAL__N_143distribution_elementwise_grid_stride_kernelIfLi4EZNS0_9templates4cuda21uniform_and_transformIN3c108BFloat16EfPNS_17CUDAGeneratorImplEZZZNS4_14uniform_kernelIS9_EEvRNS_18TensorIteratorBaseEddT_ENKUlvE_clEvENKUlvE2_clEvEUlfE_EEvSC_T1_T2_EUlP25hiprandStatePhilox4_32_10E_ZNS1_27distribution_nullary_kernelIS7_f15HIP_vector_typeIdLj2EES9_SL_SG_EEvSC_SI_RKT3_T4_EUlifE0_EEvlNS_15PhiloxCudaStateESH_SI_ ; -- Begin function _ZN2at6native12_GLOBAL__N_143distribution_elementwise_grid_stride_kernelIfLi4EZNS0_9templates4cuda21uniform_and_transformIN3c108BFloat16EfPNS_17CUDAGeneratorImplEZZZNS4_14uniform_kernelIS9_EEvRNS_18TensorIteratorBaseEddT_ENKUlvE_clEvENKUlvE2_clEvEUlfE_EEvSC_T1_T2_EUlP25hiprandStatePhilox4_32_10E_ZNS1_27distribution_nullary_kernelIS7_f15HIP_vector_typeIdLj2EES9_SL_SG_EEvSC_SI_RKT3_T4_EUlifE0_EEvlNS_15PhiloxCudaStateESH_SI_
	.p2align	8
	.type	_ZN2at6native12_GLOBAL__N_143distribution_elementwise_grid_stride_kernelIfLi4EZNS0_9templates4cuda21uniform_and_transformIN3c108BFloat16EfPNS_17CUDAGeneratorImplEZZZNS4_14uniform_kernelIS9_EEvRNS_18TensorIteratorBaseEddT_ENKUlvE_clEvENKUlvE2_clEvEUlfE_EEvSC_T1_T2_EUlP25hiprandStatePhilox4_32_10E_ZNS1_27distribution_nullary_kernelIS7_f15HIP_vector_typeIdLj2EES9_SL_SG_EEvSC_SI_RKT3_T4_EUlifE0_EEvlNS_15PhiloxCudaStateESH_SI_,@function
_ZN2at6native12_GLOBAL__N_143distribution_elementwise_grid_stride_kernelIfLi4EZNS0_9templates4cuda21uniform_and_transformIN3c108BFloat16EfPNS_17CUDAGeneratorImplEZZZNS4_14uniform_kernelIS9_EEvRNS_18TensorIteratorBaseEddT_ENKUlvE_clEvENKUlvE2_clEvEUlfE_EEvSC_T1_T2_EUlP25hiprandStatePhilox4_32_10E_ZNS1_27distribution_nullary_kernelIS7_f15HIP_vector_typeIdLj2EES9_SL_SG_EEvSC_SI_RKT3_T4_EUlifE0_EEvlNS_15PhiloxCudaStateESH_SI_: ; @_ZN2at6native12_GLOBAL__N_143distribution_elementwise_grid_stride_kernelIfLi4EZNS0_9templates4cuda21uniform_and_transformIN3c108BFloat16EfPNS_17CUDAGeneratorImplEZZZNS4_14uniform_kernelIS9_EEvRNS_18TensorIteratorBaseEddT_ENKUlvE_clEvENKUlvE2_clEvEUlfE_EEvSC_T1_T2_EUlP25hiprandStatePhilox4_32_10E_ZNS1_27distribution_nullary_kernelIS7_f15HIP_vector_typeIdLj2EES9_SL_SG_EEvSC_SI_RKT3_T4_EUlifE0_EEvlNS_15PhiloxCudaStateESH_SI_
; %bb.0:
	s_clause 0x2
	s_load_b64 s[4:5], s[0:1], 0x10
	s_load_b128 s[16:19], s[0:1], 0x0
	s_load_b32 s2, s[0:1], 0x20
	s_waitcnt lgkmcnt(0)
	v_dual_mov_b32 v2, s4 :: v_dual_mov_b32 v3, s5
	v_dual_mov_b32 v11, s18 :: v_dual_mov_b32 v12, s19
	s_bitcmp0_b32 s2, 0
	s_mov_b32 s2, 0
	s_cbranch_scc1 .LBB13_2
; %bb.1:
	v_dual_mov_b32 v1, s4 :: v_dual_mov_b32 v2, s5
	v_dual_mov_b32 v4, s18 :: v_dual_mov_b32 v5, s19
	s_load_b64 s[4:5], s[0:1], 0x18
	flat_load_b64 v[2:3], v[1:2]
	flat_load_b64 v[11:12], v[4:5]
	s_waitcnt vmcnt(1) lgkmcnt(0)
	v_add_co_u32 v2, vcc_lo, v2, s4
	v_add_co_ci_u32_e32 v3, vcc_lo, s5, v3, vcc_lo
.LBB13_2:
	s_clause 0x1
	s_load_b32 s3, s[0:1], 0x154
	s_load_b32 s4, s[0:1], 0x148
	s_waitcnt lgkmcnt(0)
	s_and_b32 s5, s3, 0xffff
	s_add_u32 s6, s16, -1
	s_mul_i32 s26, s4, s5
	s_addc_u32 s3, s17, -1
	s_lshl_b32 s27, s26, 2
	s_cmp_lg_u64 s[2:3], 0
	s_cbranch_scc0 .LBB13_49
; %bb.3:
	v_cvt_f32_ubyte0_e32 v1, 0
	v_cvt_f32_u32_e32 v4, s27
	s_sub_u32 s8, 0, s27
	s_subb_u32 s9, 0, 0
	s_delay_alu instid0(VALU_DEP_1) | instskip(NEXT) | instid1(VALU_DEP_1)
	v_fmamk_f32 v1, v1, 0x4f800000, v4
	v_rcp_f32_e32 v1, v1
	s_waitcnt_depctr 0xfff
	v_mul_f32_e32 v1, 0x5f7ffffc, v1
	s_delay_alu instid0(VALU_DEP_1) | instskip(NEXT) | instid1(VALU_DEP_1)
	v_mul_f32_e32 v4, 0x2f800000, v1
	v_trunc_f32_e32 v4, v4
	s_delay_alu instid0(VALU_DEP_1) | instskip(SKIP_1) | instid1(VALU_DEP_2)
	v_fmamk_f32 v1, v4, 0xcf800000, v1
	v_cvt_u32_f32_e32 v4, v4
	v_cvt_u32_f32_e32 v1, v1
	s_delay_alu instid0(VALU_DEP_2) | instskip(NEXT) | instid1(VALU_DEP_2)
	v_readfirstlane_b32 s2, v4
	v_readfirstlane_b32 s7, v1
	s_delay_alu instid0(VALU_DEP_2) | instskip(NEXT) | instid1(VALU_DEP_1)
	s_mul_i32 s10, s8, s2
	s_mul_hi_u32 s12, s8, s7
	s_mul_i32 s11, s9, s7
	s_add_i32 s10, s12, s10
	s_mul_i32 s13, s8, s7
	s_add_i32 s10, s10, s11
	s_mul_hi_u32 s12, s7, s13
	s_mul_hi_u32 s14, s2, s13
	s_mul_i32 s11, s2, s13
	s_mul_hi_u32 s13, s7, s10
	s_mul_i32 s7, s7, s10
	s_mul_hi_u32 s18, s2, s10
	s_add_u32 s7, s12, s7
	s_addc_u32 s12, 0, s13
	s_add_u32 s7, s7, s11
	s_mul_i32 s10, s2, s10
	s_addc_u32 s7, s12, s14
	s_addc_u32 s11, s18, 0
	s_add_u32 s7, s7, s10
	s_addc_u32 s10, 0, s11
	v_add_co_u32 v1, s7, v1, s7
	s_delay_alu instid0(VALU_DEP_1) | instskip(SKIP_1) | instid1(VALU_DEP_1)
	s_cmp_lg_u32 s7, 0
	s_addc_u32 s2, s2, s10
	v_readfirstlane_b32 s7, v1
	s_mul_i32 s10, s8, s2
	s_delay_alu instid0(VALU_DEP_1)
	s_mul_hi_u32 s11, s8, s7
	s_mul_i32 s9, s9, s7
	s_add_i32 s10, s11, s10
	s_mul_i32 s8, s8, s7
	s_add_i32 s10, s10, s9
	s_mul_hi_u32 s11, s2, s8
	s_mul_i32 s12, s2, s8
	s_mul_hi_u32 s8, s7, s8
	s_mul_hi_u32 s13, s7, s10
	s_mul_i32 s7, s7, s10
	s_mul_hi_u32 s9, s2, s10
	s_add_u32 s7, s8, s7
	s_addc_u32 s8, 0, s13
	s_add_u32 s7, s7, s12
	s_mul_i32 s10, s2, s10
	s_addc_u32 s7, s8, s11
	s_addc_u32 s8, s9, 0
	s_add_u32 s7, s7, s10
	s_addc_u32 s8, 0, s8
	v_add_co_u32 v1, s7, v1, s7
	s_delay_alu instid0(VALU_DEP_1) | instskip(SKIP_2) | instid1(VALU_DEP_1)
	s_cmp_lg_u32 s7, 0
	s_addc_u32 s7, s2, s8
	s_ashr_i32 s8, s3, 31
	v_readfirstlane_b32 s10, v1
	s_add_u32 s2, s6, s8
	s_mov_b32 s9, s8
	s_addc_u32 s3, s3, s8
	s_delay_alu instid0(SALU_CYCLE_1) | instskip(NEXT) | instid1(SALU_CYCLE_1)
	s_xor_b64 s[2:3], s[2:3], s[8:9]
	s_mul_i32 s12, s2, s7
	s_mul_hi_u32 s13, s2, s10
	s_mul_hi_u32 s11, s2, s7
	;; [unrolled: 1-line block ×3, first 2 shown]
	s_mul_i32 s10, s3, s10
	s_add_u32 s12, s13, s12
	s_addc_u32 s11, 0, s11
	s_mul_hi_u32 s14, s3, s7
	s_add_u32 s10, s12, s10
	s_mul_i32 s7, s3, s7
	s_addc_u32 s10, s11, s18
	s_addc_u32 s11, s14, 0
	s_add_u32 s7, s10, s7
	s_addc_u32 s10, 0, s11
	s_mul_i32 s12, s27, s7
	s_add_u32 s11, s7, 1
	v_sub_co_u32 v1, s2, s2, s12
	s_mul_hi_u32 s12, s27, s7
	s_addc_u32 s13, s10, 0
	s_mul_i32 s14, s27, s10
	s_delay_alu instid0(VALU_DEP_1)
	v_sub_co_u32 v4, s18, v1, s27
	s_add_u32 s19, s7, 2
	s_addc_u32 s20, s10, 0
	s_add_i32 s12, s12, s14
	s_cmp_lg_u32 s2, 0
	v_readfirstlane_b32 s2, v4
	s_subb_u32 s3, s3, s12
	s_cmp_lg_u32 s18, 0
	s_subb_u32 s12, s3, 0
	s_delay_alu instid0(VALU_DEP_1) | instskip(SKIP_4) | instid1(SALU_CYCLE_1)
	s_cmp_ge_u32 s2, s27
	s_cselect_b32 s2, -1, 0
	s_cmp_eq_u32 s12, 0
	v_readfirstlane_b32 s12, v1
	s_cselect_b32 s2, s2, -1
	s_cmp_lg_u32 s2, 0
	s_cselect_b32 s2, s19, s11
	s_cselect_b32 s11, s20, s13
	s_cmp_ge_u32 s12, s27
	s_cselect_b32 s12, -1, 0
	s_cmp_eq_u32 s3, 0
	s_cselect_b32 s3, s12, -1
	s_delay_alu instid0(SALU_CYCLE_1) | instskip(SKIP_2) | instid1(SALU_CYCLE_1)
	s_cmp_lg_u32 s3, 0
	s_cselect_b32 s3, s11, s10
	s_cselect_b32 s2, s2, s7
	s_xor_b64 s[2:3], s[2:3], s[8:9]
	s_delay_alu instid0(SALU_CYCLE_1)
	s_sub_u32 s2, s2, s8
	s_subb_u32 s3, s3, s8
	s_cbranch_execnz .LBB13_5
.LBB13_4:
	v_cvt_f32_u32_e32 v1, s27
	s_sub_i32 s3, 0, s27
	s_delay_alu instid0(VALU_DEP_1) | instskip(SKIP_2) | instid1(VALU_DEP_1)
	v_rcp_iflag_f32_e32 v1, v1
	s_waitcnt_depctr 0xfff
	v_mul_f32_e32 v1, 0x4f7ffffe, v1
	v_cvt_u32_f32_e32 v1, v1
	s_delay_alu instid0(VALU_DEP_1) | instskip(NEXT) | instid1(VALU_DEP_1)
	v_readfirstlane_b32 s2, v1
	s_mul_i32 s3, s3, s2
	s_delay_alu instid0(SALU_CYCLE_1) | instskip(NEXT) | instid1(SALU_CYCLE_1)
	s_mul_hi_u32 s3, s2, s3
	s_add_i32 s2, s2, s3
	s_delay_alu instid0(SALU_CYCLE_1) | instskip(NEXT) | instid1(SALU_CYCLE_1)
	s_mul_hi_u32 s2, s6, s2
	s_mul_i32 s3, s2, s27
	s_delay_alu instid0(SALU_CYCLE_1)
	s_sub_i32 s3, s6, s3
	s_add_i32 s6, s2, 1
	s_sub_i32 s7, s3, s27
	s_cmp_ge_u32 s3, s27
	s_cselect_b32 s2, s6, s2
	s_cselect_b32 s3, s7, s3
	s_add_i32 s6, s2, 1
	s_cmp_ge_u32 s3, s27
	s_mov_b32 s3, 0
	s_cselect_b32 s2, s6, s2
.LBB13_5:
	v_mov_b32_e32 v1, 0
	s_add_u32 s2, s2, 1
	s_addc_u32 s3, s3, 0
	s_mul_hi_u32 s6, s26, s2
	s_mul_i32 s3, s26, s3
	v_mad_u64_u32 v[13:14], null, s5, s15, v[0:1]
	s_mul_hi_u32 s4, s4, s5
	s_add_i32 s3, s6, s3
	s_mul_i32 s4, s4, s2
	s_mul_i32 s2, s26, s2
	s_add_i32 s3, s3, s4
	s_mov_b32 s4, exec_lo
	s_lshl_b64 s[2:3], s[2:3], 2
	s_delay_alu instid0(SALU_CYCLE_1)
	v_cmpx_gt_i64_e64 s[2:3], v[13:14]
	s_cbranch_execz .LBB13_48
; %bb.6:
	v_alignbit_b32 v17, v3, v2, 2
	v_mad_u64_u32 v[4:5], null, 0xcd9e8d57, v13, 0
	v_lshrrev_b32_e32 v18, 2, v3
	s_waitcnt vmcnt(0)
	v_dual_mov_b32 v9, v12 :: v_dual_and_b32 v26, 3, v2
	v_mad_u64_u32 v[0:1], null, 0xd2511f53, v17, 0
	v_add_co_u32 v20, null, 0x9e3779b9, v11
	v_xor3_b32 v3, v11, v5, v18
	s_delay_alu instid0(VALU_DEP_4) | instskip(SKIP_2) | instid1(VALU_DEP_4)
	v_add_co_u32 v19, null, 0xbb67ae85, v9
	v_add_co_u32 v21, null, 0x3c6ef372, v11
	v_xor_b32_e32 v1, v1, v12
	v_mad_u64_u32 v[5:6], null, 0xd2511f53, v3, 0
	v_add_co_u32 v22, null, 0x76cf5d0a, v9
	s_delay_alu instid0(VALU_DEP_3) | instskip(SKIP_2) | instid1(VALU_DEP_3)
	v_xor_b32_e32 v1, v1, v14
	v_add_co_u32 v23, null, 0x32370b8f, v9
	v_add_co_u32 v24, null, 0xdaa66d2b, v11
	v_mad_u64_u32 v[7:8], null, 0xcd9e8d57, v1, 0
	v_xor3_b32 v3, v19, v6, v0
	v_add_co_u32 v25, null, 0x78dde6e4, v11
	v_add_co_u32 v27, null, 0xed9eba14, v9
	s_delay_alu instid0(VALU_DEP_3) | instskip(SKIP_3) | instid1(VALU_DEP_3)
	v_mad_u64_u32 v[0:1], null, 0xcd9e8d57, v3, 0
	v_xor3_b32 v6, v20, v8, v4
	v_add_co_u32 v30, null, 0xa9066899, v9
	v_add_co_u32 v31, null, 0x1715609d, v11
	v_mad_u64_u32 v[3:4], null, 0xd2511f53, v6, 0
	v_xor3_b32 v1, v21, v1, v7
	v_add_co_u32 v33, null, 0xb54cda56, v11
	v_add_co_u32 v35, null, 0x646e171e, v9
	s_load_b256 s[4:11], s[0:1], 0x30
	s_delay_alu instid0(VALU_DEP_4) | instskip(SKIP_2) | instid1(VALU_DEP_3)
	v_xor3_b32 v8, v22, v4, v5
	v_mad_u64_u32 v[4:5], null, 0xd2511f53, v1, 0
	v_add_co_u32 v32, null, 0x5384540f, v11
	v_mad_u64_u32 v[6:7], null, 0xcd9e8d57, v8, 0
	v_add_co_u32 v37, null, 0x1fd5c5a3, v9
	s_delay_alu instid0(VALU_DEP_4) | instskip(SKIP_4) | instid1(VALU_DEP_4)
	v_xor3_b32 v3, v23, v5, v3
	s_clause 0x1
	s_load_b64 s[20:21], s[0:1], 0xf4
	s_load_b128 s[12:15], s[0:1], 0x138
	v_add_co_u32 v34, null, 0xf1bbcdc8, v11
	v_xor3_b32 v5, v24, v7, v0
	v_mad_u64_u32 v[0:1], null, 0xcd9e8d57, v3, 0
	v_add_co_u32 v38, null, 0xdb3d7428, v9
	s_delay_alu instid0(VALU_DEP_3) | instskip(SKIP_2) | instid1(VALU_DEP_3)
	v_mad_u64_u32 v[7:8], null, 0xd2511f53, v5, 0
	s_add_u32 s18, s0, 48
	s_addc_u32 s19, s1, 0
	v_xor3_b32 v3, v25, v1, v6
	s_waitcnt lgkmcnt(0)
	s_add_i32 s22, s4, -1
	v_dual_mov_b32 v36, v13 :: v_dual_add_nc_u32 v29, 0x96a522ad, v12
	s_delay_alu instid0(VALU_DEP_3) | instskip(SKIP_3) | instid1(VALU_DEP_3)
	v_xor3_b32 v5, v27, v8, v4
	v_mad_u64_u32 v[1:2], null, 0xd2511f53, v3, 0
	s_cmp_gt_u32 s22, 1
	v_mov_b32_e32 v39, v14
	v_mad_u64_u32 v[3:4], null, 0xcd9e8d57, v5, 0
	s_cselect_b32 s11, -1, 0
	s_cmp_lg_u32 s4, 0
	s_delay_alu instid0(VALU_DEP_3) | instskip(SKIP_3) | instid1(VALU_DEP_2)
	v_xor3_b32 v2, v30, v2, v7
	s_cselect_b32 s29, -1, 0
	s_add_u32 s0, s0, 0xf4
	s_addc_u32 s1, s1, 0
	v_xor3_b32 v0, v31, v4, v0
	v_mad_u64_u32 v[4:5], null, 0xcd9e8d57, v2, 0
	s_min_u32 s23, s22, 15
	s_cmp_gt_u32 s4, 1
	s_delay_alu instid0(VALU_DEP_2) | instskip(SKIP_2) | instid1(VALU_DEP_2)
	v_mad_u64_u32 v[6:7], null, 0xd2511f53, v0, 0
	s_cselect_b32 s4, -1, 0
	s_add_i32 s23, s23, 1
	v_xor3_b32 v2, v33, v5, v3
	s_lshl_b32 s30, s15, 16
	s_and_b32 s31, s23, 3
	s_cmp_lg_u32 s22, 2
	s_delay_alu instid0(VALU_DEP_2) | instskip(SKIP_3) | instid1(VALU_DEP_2)
	v_xor3_b32 v5, v35, v7, v1
	v_mad_u64_u32 v[0:1], null, 0xd2511f53, v2, 0
	s_cselect_b32 s33, -1, 0
	s_and_b32 s34, s23, 28
	v_mad_u64_u32 v[2:3], null, 0xcd9e8d57, v5, 0
	s_cmp_lg_u32 s31, 0
	s_mov_b32 s28, 0
	s_delay_alu instid0(VALU_DEP_2) | instskip(SKIP_2) | instid1(VALU_DEP_2)
	v_xor3_b32 v1, v37, v1, v6
	s_pack_lh_b32_b16 s35, 0, s15
	s_cselect_b32 s36, -1, 0
	v_xor3_b32 v3, v32, v3, v4
	s_delay_alu instid0(VALU_DEP_2) | instskip(NEXT) | instid1(VALU_DEP_2)
	v_mad_u64_u32 v[4:5], null, 0xcd9e8d57, v1, 0
	v_mad_u64_u32 v[6:7], null, 0xd2511f53, v3, 0
	s_delay_alu instid0(VALU_DEP_2) | instskip(NEXT) | instid1(VALU_DEP_2)
	v_xor3_b32 v1, v34, v5, v2
	v_xor3_b32 v0, v38, v7, v0
	s_delay_alu instid0(VALU_DEP_2) | instskip(SKIP_1) | instid1(VALU_DEP_3)
	v_mad_u64_u32 v[7:8], null, 0xd2511f53, v1, 0
	v_add_nc_u32_e32 v28, 0x8ff34781, v11
	v_mad_u64_u32 v[1:2], null, 0xcd9e8d57, v0, 0
	s_delay_alu instid0(VALU_DEP_3) | instskip(NEXT) | instid1(VALU_DEP_2)
	v_mov_b32_e32 v3, v7
	v_xor3_b32 v0, v2, v4, v28
	v_xor3_b32 v2, v8, v6, v29
	s_branch .LBB13_9
.LBB13_7:                               ;   in Loop: Header=BB13_9 Depth=1
	v_lshrrev_b32_e32 v0, 11, v3
	v_cvt_f64_u32_e32 v[2:3], v2
	s_delay_alu instid0(VALU_DEP_2) | instskip(NEXT) | instid1(VALU_DEP_1)
	v_cvt_f64_u32_e32 v[7:8], v0
	v_ldexp_f64 v[7:8], v[7:8], 32
	s_delay_alu instid0(VALU_DEP_1) | instskip(NEXT) | instid1(VALU_DEP_1)
	v_add_f64 v[2:3], v[7:8], v[2:3]
	v_fma_f64 v[2:3], 0x3ca00000, v[2:3], 0x3ca00000
	s_delay_alu instid0(VALU_DEP_1) | instskip(NEXT) | instid1(VALU_DEP_1)
	v_cvt_f32_f64_e32 v0, v[2:3]
	v_fma_f32 v0, s14, v0, s30
	s_delay_alu instid0(VALU_DEP_1) | instskip(SKIP_1) | instid1(VALU_DEP_2)
	v_bfe_u32 v2, v0, 16, 1
	v_cmp_o_f32_e32 vcc_lo, v0, v0
	v_add3_u32 v2, v0, v2, 0x7fff
	s_delay_alu instid0(VALU_DEP_1) | instskip(NEXT) | instid1(VALU_DEP_1)
	v_lshrrev_b32_e32 v2, 16, v2
	v_cndmask_b32_e32 v0, 0x7fc0, v2, vcc_lo
	s_delay_alu instid0(VALU_DEP_1) | instskip(NEXT) | instid1(VALU_DEP_1)
	v_lshlrev_b32_e32 v2, 16, v0
	v_cmp_eq_f32_e32 vcc_lo, s35, v2
	v_cndmask_b32_e64 v0, v0, s15, vcc_lo
	global_store_b16 v1, v0, s[12:13]
.LBB13_8:                               ;   in Loop: Header=BB13_9 Depth=1
	s_or_b32 exec_lo, exec_lo, s37
	v_add_co_u32 v13, vcc_lo, v13, s27
	v_add_co_ci_u32_e32 v14, vcc_lo, 0, v14, vcc_lo
	v_mov_b32_e32 v7, v15
	v_dual_mov_b32 v0, v4 :: v_dual_mov_b32 v1, v5
	s_delay_alu instid0(VALU_DEP_3) | instskip(NEXT) | instid1(VALU_DEP_3)
	v_cmp_le_i64_e32 vcc_lo, s[2:3], v[13:14]
	v_dual_mov_b32 v2, v6 :: v_dual_mov_b32 v3, v7
	s_waitcnt_vscnt null, 0x0
	s_barrier
	buffer_gl0_inv
	s_or_b32 s28, vcc_lo, s28
	s_delay_alu instid0(SALU_CYCLE_1)
	s_and_not1_b32 exec_lo, exec_lo, s28
	s_cbranch_execz .LBB13_48
.LBB13_9:                               ; =>This Loop Header: Depth=1
                                        ;     Child Loop BB13_24 Depth 2
                                        ;     Child Loop BB13_29 Depth 2
	;; [unrolled: 1-line block ×4, first 2 shown]
	v_add_co_u32 v17, vcc_lo, v17, 1
	s_delay_alu instid0(VALU_DEP_1) | instskip(SKIP_2) | instid1(VALU_DEP_1)
	v_cndmask_b32_e64 v4, 0, 1, vcc_lo
	v_add_co_ci_u32_e32 v18, vcc_lo, 0, v18, vcc_lo
	s_mov_b32 s22, exec_lo
	v_cmp_eq_u32_e32 vcc_lo, 0, v18
	s_delay_alu instid0(VALU_DEP_3) | instskip(NEXT) | instid1(VALU_DEP_1)
	v_cndmask_b32_e32 v4, 0, v4, vcc_lo
	v_add_nc_u32_e32 v36, v4, v36
	s_delay_alu instid0(VALU_DEP_1) | instskip(SKIP_2) | instid1(VALU_DEP_2)
	v_cmp_eq_u32_e32 vcc_lo, 0, v36
	v_mad_u64_u32 v[6:7], null, 0xcd9e8d57, v36, 0
	v_cndmask_b32_e32 v4, 0, v4, vcc_lo
	v_xor3_b32 v9, v7, v11, v18
	s_delay_alu instid0(VALU_DEP_2) | instskip(SKIP_1) | instid1(VALU_DEP_3)
	v_add_nc_u32_e32 v39, v4, v39
	v_mad_u64_u32 v[4:5], null, 0xd2511f53, v17, 0
	v_mad_u64_u32 v[7:8], null, 0xd2511f53, v9, 0
	s_delay_alu instid0(VALU_DEP_2) | instskip(NEXT) | instid1(VALU_DEP_2)
	v_xor_b32_e32 v5, v5, v12
	v_xor3_b32 v8, v19, v8, v4
	s_delay_alu instid0(VALU_DEP_2) | instskip(NEXT) | instid1(VALU_DEP_1)
	v_xor_b32_e32 v5, v39, v5
	v_mad_u64_u32 v[9:10], null, 0xcd9e8d57, v5, 0
	s_delay_alu instid0(VALU_DEP_3) | instskip(NEXT) | instid1(VALU_DEP_2)
	v_mad_u64_u32 v[4:5], null, 0xcd9e8d57, v8, 0
	v_xor3_b32 v6, v20, v10, v6
	s_delay_alu instid0(VALU_DEP_2) | instskip(NEXT) | instid1(VALU_DEP_2)
	v_xor3_b32 v8, v21, v5, v9
	v_mad_u64_u32 v[15:16], null, 0xd2511f53, v6, 0
	s_delay_alu instid0(VALU_DEP_2) | instskip(NEXT) | instid1(VALU_DEP_2)
	v_mad_u64_u32 v[5:6], null, 0xd2511f53, v8, 0
	v_xor3_b32 v9, v22, v16, v7
	s_delay_alu instid0(VALU_DEP_2) | instskip(NEXT) | instid1(VALU_DEP_2)
	v_xor3_b32 v6, v23, v6, v15
	v_mad_u64_u32 v[7:8], null, 0xcd9e8d57, v9, 0
	s_delay_alu instid0(VALU_DEP_1) | instskip(NEXT) | instid1(VALU_DEP_3)
	v_xor3_b32 v4, v24, v8, v4
	v_mad_u64_u32 v[8:9], null, 0xcd9e8d57, v6, 0
	s_delay_alu instid0(VALU_DEP_2) | instskip(NEXT) | instid1(VALU_DEP_2)
	v_mad_u64_u32 v[15:16], null, 0xd2511f53, v4, 0
	v_xor3_b32 v6, v25, v9, v7
	s_delay_alu instid0(VALU_DEP_2) | instskip(NEXT) | instid1(VALU_DEP_2)
	v_xor3_b32 v9, v27, v16, v5
	v_mad_u64_u32 v[4:5], null, 0xd2511f53, v6, 0
	s_delay_alu instid0(VALU_DEP_2) | instskip(NEXT) | instid1(VALU_DEP_2)
	v_mad_u64_u32 v[6:7], null, 0xcd9e8d57, v9, 0
	v_xor3_b32 v5, v30, v5, v15
	s_delay_alu instid0(VALU_DEP_2) | instskip(NEXT) | instid1(VALU_DEP_2)
	;; [unrolled: 6-line block ×6, first 2 shown]
	v_xor3_b32 v4, v6, v7, v28
	v_mov_b32_e32 v6, v10
	v_cmpx_lt_i32_e32 1, v26
	s_xor_b32 s22, exec_lo, s22
	s_cbranch_execnz .LBB13_12
; %bb.10:                               ;   in Loop: Header=BB13_9 Depth=1
	s_and_not1_saveexec_b32 s22, s22
	s_cbranch_execnz .LBB13_17
.LBB13_11:                              ;   in Loop: Header=BB13_9 Depth=1
	s_or_b32 exec_lo, exec_lo, s22
	s_delay_alu instid0(SALU_CYCLE_1)
	s_mov_b32 s37, exec_lo
	v_cmpx_gt_i64_e64 s[16:17], v[13:14]
	s_cbranch_execnz .LBB13_20
	s_branch .LBB13_34
.LBB13_12:                              ;   in Loop: Header=BB13_9 Depth=1
	s_mov_b32 s23, exec_lo
	v_cmpx_lt_i32_e32 2, v26
	s_xor_b32 s23, exec_lo, s23
; %bb.13:                               ;   in Loop: Header=BB13_9 Depth=1
	v_dual_mov_b32 v7, v3 :: v_dual_mov_b32 v8, v4
	v_mov_b32_e32 v9, v5
	s_delay_alu instid0(VALU_DEP_2) | instskip(NEXT) | instid1(VALU_DEP_2)
	v_dual_mov_b32 v0, v7 :: v_dual_mov_b32 v1, v8
	v_dual_mov_b32 v2, v9 :: v_dual_mov_b32 v3, v10
; %bb.14:                               ;   in Loop: Header=BB13_9 Depth=1
	s_and_not1_saveexec_b32 s23, s23
; %bb.15:                               ;   in Loop: Header=BB13_9 Depth=1
	s_delay_alu instid0(VALU_DEP_1)
	v_dual_mov_b32 v0, v2 :: v_dual_mov_b32 v1, v3
	v_dual_mov_b32 v2, v4 :: v_dual_mov_b32 v3, v5
; %bb.16:                               ;   in Loop: Header=BB13_9 Depth=1
	s_or_b32 exec_lo, exec_lo, s23
	s_and_not1_saveexec_b32 s22, s22
	s_cbranch_execz .LBB13_11
.LBB13_17:                              ;   in Loop: Header=BB13_9 Depth=1
	s_mov_b32 s23, exec_lo
	v_cmpx_eq_u32_e32 1, v26
; %bb.18:                               ;   in Loop: Header=BB13_9 Depth=1
	v_dual_mov_b32 v0, v1 :: v_dual_mov_b32 v1, v2
	v_dual_mov_b32 v2, v3 :: v_dual_mov_b32 v3, v4
; %bb.19:                               ;   in Loop: Header=BB13_9 Depth=1
	s_or_b32 exec_lo, exec_lo, s23
	s_delay_alu instid0(SALU_CYCLE_1) | instskip(NEXT) | instid1(SALU_CYCLE_1)
	s_or_b32 exec_lo, exec_lo, s22
	s_mov_b32 s37, exec_lo
	v_cmpx_gt_i64_e64 s[16:17], v[13:14]
	s_cbranch_execz .LBB13_34
.LBB13_20:                              ;   in Loop: Header=BB13_9 Depth=1
	s_and_not1_b32 vcc_lo, exec_lo, s11
	s_cbranch_vccnz .LBB13_26
; %bb.21:                               ;   in Loop: Header=BB13_9 Depth=1
	v_mov_b32_e32 v7, 0
	s_and_not1_b32 vcc_lo, exec_lo, s29
	s_cbranch_vccnz .LBB13_30
; %bb.22:                               ;   in Loop: Header=BB13_9 Depth=1
	s_and_not1_b32 vcc_lo, exec_lo, s33
	s_mov_b32 s22, 0
	s_cbranch_vccnz .LBB13_27
; %bb.23:                               ;   in Loop: Header=BB13_9 Depth=1
	v_dual_mov_b32 v7, 0 :: v_dual_mov_b32 v8, v13
	s_mov_b32 s38, 0
	s_mov_b64 s[22:23], s[18:19]
	s_mov_b64 s[24:25], s[0:1]
.LBB13_24:                              ;   Parent Loop BB13_9 Depth=1
                                        ; =>  This Inner Loop Header: Depth=2
	s_clause 0x1
	s_load_b256 s[40:47], s[22:23], 0x4
	s_load_b128 s[48:51], s[22:23], 0x24
	s_load_b128 s[52:55], s[24:25], 0x0
	s_add_u32 s22, s22, 48
	s_addc_u32 s23, s23, 0
	s_add_i32 s38, s38, 4
	s_add_u32 s24, s24, 16
	s_addc_u32 s25, s25, 0
	s_cmp_lg_u32 s34, s38
	s_waitcnt lgkmcnt(0)
	v_mul_hi_u32 v9, s41, v8
	s_delay_alu instid0(VALU_DEP_1) | instskip(NEXT) | instid1(VALU_DEP_1)
	v_add_nc_u32_e32 v9, v8, v9
	v_lshrrev_b32_e32 v9, s42, v9
	s_delay_alu instid0(VALU_DEP_1) | instskip(SKIP_1) | instid1(VALU_DEP_2)
	v_mul_hi_u32 v10, s44, v9
	v_mul_lo_u32 v41, v9, s40
	v_add_nc_u32_e32 v10, v9, v10
	s_delay_alu instid0(VALU_DEP_2) | instskip(NEXT) | instid1(VALU_DEP_2)
	v_sub_nc_u32_e32 v41, v8, v41
	v_lshrrev_b32_e32 v10, s45, v10
	s_delay_alu instid0(VALU_DEP_2) | instskip(NEXT) | instid1(VALU_DEP_2)
	v_mul_lo_u32 v41, v41, s52
	v_mul_hi_u32 v16, s47, v10
	v_mul_lo_u32 v42, v10, s43
	s_delay_alu instid0(VALU_DEP_2) | instskip(NEXT) | instid1(VALU_DEP_2)
	v_add_nc_u32_e32 v16, v10, v16
	v_sub_nc_u32_e32 v9, v9, v42
	s_delay_alu instid0(VALU_DEP_2) | instskip(NEXT) | instid1(VALU_DEP_2)
	v_lshrrev_b32_e32 v16, s48, v16
	v_mul_lo_u32 v9, v9, s53
	s_delay_alu instid0(VALU_DEP_2) | instskip(NEXT) | instid1(VALU_DEP_2)
	v_mul_hi_u32 v40, s50, v16
	v_add3_u32 v7, v41, v7, v9
	s_delay_alu instid0(VALU_DEP_2) | instskip(NEXT) | instid1(VALU_DEP_1)
	v_add_nc_u32_e32 v40, v16, v40
	v_lshrrev_b32_e32 v8, s51, v40
	v_mul_lo_u32 v40, v16, s46
	s_delay_alu instid0(VALU_DEP_2) | instskip(NEXT) | instid1(VALU_DEP_2)
	v_mul_lo_u32 v43, v8, s49
	v_sub_nc_u32_e32 v10, v10, v40
	s_delay_alu instid0(VALU_DEP_2) | instskip(NEXT) | instid1(VALU_DEP_2)
	v_sub_nc_u32_e32 v16, v16, v43
	v_mul_lo_u32 v10, v10, s54
	s_delay_alu instid0(VALU_DEP_2) | instskip(NEXT) | instid1(VALU_DEP_1)
	v_mul_lo_u32 v16, v16, s55
	v_add3_u32 v7, v10, v7, v16
	s_cbranch_scc1 .LBB13_24
; %bb.25:                               ;   in Loop: Header=BB13_9 Depth=1
	s_mov_b32 s22, s34
	s_and_not1_b32 vcc_lo, exec_lo, s36
	s_cbranch_vccz .LBB13_28
	s_branch .LBB13_30
.LBB13_26:                              ;   in Loop: Header=BB13_9 Depth=1
                                        ; implicit-def: $vgpr7
	s_branch .LBB13_31
.LBB13_27:                              ;   in Loop: Header=BB13_9 Depth=1
	v_mov_b32_e32 v8, v13
	s_and_not1_b32 vcc_lo, exec_lo, s36
	s_cbranch_vccnz .LBB13_30
.LBB13_28:                              ;   in Loop: Header=BB13_9 Depth=1
	s_lshl_b32 s23, s22, 2
	s_mul_i32 s24, s22, 12
	s_add_u32 s22, s0, s23
	s_addc_u32 s23, s1, 0
	s_add_u32 s24, s18, s24
	s_addc_u32 s25, s19, 0
	s_mov_b32 s38, s31
	.p2align	6
.LBB13_29:                              ;   Parent Loop BB13_9 Depth=1
                                        ; =>  This Inner Loop Header: Depth=2
	s_clause 0x1
	s_load_b64 s[40:41], s[24:25], 0x4
	s_load_b32 s39, s[24:25], 0xc
	s_add_u32 s24, s24, 12
	s_addc_u32 s25, s25, 0
	s_waitcnt lgkmcnt(0)
	v_mul_hi_u32 v9, s41, v8
	s_load_b32 s41, s[22:23], 0x0
	s_add_u32 s22, s22, 4
	s_addc_u32 s23, s23, 0
	s_add_i32 s38, s38, -1
	s_delay_alu instid0(SALU_CYCLE_1) | instskip(NEXT) | instid1(VALU_DEP_1)
	s_cmp_lg_u32 s38, 0
	v_add_nc_u32_e32 v9, v8, v9
	s_delay_alu instid0(VALU_DEP_1) | instskip(NEXT) | instid1(VALU_DEP_1)
	v_lshrrev_b32_e32 v16, s39, v9
	v_mul_lo_u32 v9, v16, s40
	s_delay_alu instid0(VALU_DEP_1) | instskip(SKIP_1) | instid1(VALU_DEP_1)
	v_sub_nc_u32_e32 v8, v8, v9
	s_waitcnt lgkmcnt(0)
	v_mad_u64_u32 v[9:10], null, v8, s41, v[7:8]
	s_delay_alu instid0(VALU_DEP_1)
	v_dual_mov_b32 v8, v16 :: v_dual_mov_b32 v7, v9
	s_cbranch_scc1 .LBB13_29
.LBB13_30:                              ;   in Loop: Header=BB13_9 Depth=1
	s_cbranch_execnz .LBB13_33
.LBB13_31:                              ;   in Loop: Header=BB13_9 Depth=1
	v_mul_hi_u32 v7, v13, s6
	s_and_not1_b32 vcc_lo, exec_lo, s4
	s_delay_alu instid0(VALU_DEP_1) | instskip(NEXT) | instid1(VALU_DEP_1)
	v_add_nc_u32_e32 v7, v7, v13
	v_lshrrev_b32_e32 v8, s7, v7
	s_delay_alu instid0(VALU_DEP_1) | instskip(NEXT) | instid1(VALU_DEP_1)
	v_mul_lo_u32 v7, v8, s5
	v_sub_nc_u32_e32 v7, v13, v7
	s_delay_alu instid0(VALU_DEP_1)
	v_mul_lo_u32 v7, v7, s20
	s_cbranch_vccnz .LBB13_33
; %bb.32:                               ;   in Loop: Header=BB13_9 Depth=1
	v_mul_hi_u32 v9, s9, v8
	s_delay_alu instid0(VALU_DEP_1) | instskip(NEXT) | instid1(VALU_DEP_1)
	v_add_nc_u32_e32 v9, v8, v9
	v_lshrrev_b32_e32 v9, s10, v9
	s_delay_alu instid0(VALU_DEP_1) | instskip(NEXT) | instid1(VALU_DEP_1)
	v_mul_lo_u32 v9, v9, s8
	v_sub_nc_u32_e32 v10, v8, v9
	s_delay_alu instid0(VALU_DEP_1) | instskip(NEXT) | instid1(VALU_DEP_1)
	v_mad_u64_u32 v[8:9], null, v10, s21, v[7:8]
	v_mov_b32_e32 v7, v8
.LBB13_33:                              ;   in Loop: Header=BB13_9 Depth=1
	v_lshrrev_b32_e32 v1, 11, v1
	s_delay_alu instid0(VALU_DEP_1) | instskip(SKIP_1) | instid1(VALU_DEP_2)
	v_cvt_f64_u32_e32 v[8:9], v1
	v_cvt_f64_u32_e32 v[0:1], v0
	v_ldexp_f64 v[8:9], v[8:9], 32
	s_delay_alu instid0(VALU_DEP_1) | instskip(NEXT) | instid1(VALU_DEP_1)
	v_add_f64 v[0:1], v[8:9], v[0:1]
	v_fma_f64 v[0:1], 0x3ca00000, v[0:1], 0x3ca00000
	s_delay_alu instid0(VALU_DEP_1) | instskip(NEXT) | instid1(VALU_DEP_1)
	v_cvt_f32_f64_e32 v0, v[0:1]
	v_fma_f32 v0, s14, v0, s30
	s_delay_alu instid0(VALU_DEP_1) | instskip(SKIP_1) | instid1(VALU_DEP_2)
	v_bfe_u32 v1, v0, 16, 1
	v_cmp_o_f32_e32 vcc_lo, v0, v0
	v_add3_u32 v1, v0, v1, 0x7fff
	s_delay_alu instid0(VALU_DEP_1) | instskip(NEXT) | instid1(VALU_DEP_1)
	v_lshrrev_b32_e32 v1, 16, v1
	v_cndmask_b32_e32 v0, 0x7fc0, v1, vcc_lo
	s_delay_alu instid0(VALU_DEP_1) | instskip(NEXT) | instid1(VALU_DEP_1)
	v_lshlrev_b32_e32 v1, 16, v0
	v_cmp_eq_f32_e32 vcc_lo, s35, v1
	v_cndmask_b32_e64 v0, v0, s15, vcc_lo
	global_store_b16 v7, v0, s[12:13]
.LBB13_34:                              ;   in Loop: Header=BB13_9 Depth=1
	s_or_b32 exec_lo, exec_lo, s37
	v_add_co_u32 v0, vcc_lo, v13, s26
	v_add_co_ci_u32_e32 v1, vcc_lo, 0, v14, vcc_lo
	s_mov_b32 s37, exec_lo
	s_delay_alu instid0(VALU_DEP_1)
	v_cmpx_gt_i64_e64 s[16:17], v[0:1]
	s_cbranch_execz .LBB13_8
; %bb.35:                               ;   in Loop: Header=BB13_9 Depth=1
	s_and_not1_b32 vcc_lo, exec_lo, s11
	s_cbranch_vccnz .LBB13_41
; %bb.36:                               ;   in Loop: Header=BB13_9 Depth=1
	v_mov_b32_e32 v1, 0
	s_and_not1_b32 vcc_lo, exec_lo, s29
	s_cbranch_vccnz .LBB13_45
; %bb.37:                               ;   in Loop: Header=BB13_9 Depth=1
	s_and_not1_b32 vcc_lo, exec_lo, s33
	s_mov_b32 s22, 0
	s_cbranch_vccnz .LBB13_42
; %bb.38:                               ;   in Loop: Header=BB13_9 Depth=1
	v_mov_b32_e32 v1, 0
	v_mov_b32_e32 v7, v0
	s_mov_b32 s38, 0
	s_mov_b64 s[22:23], s[18:19]
	s_mov_b64 s[24:25], s[0:1]
.LBB13_39:                              ;   Parent Loop BB13_9 Depth=1
                                        ; =>  This Inner Loop Header: Depth=2
	s_clause 0x1
	s_load_b256 s[40:47], s[22:23], 0x4
	s_load_b128 s[48:51], s[22:23], 0x24
	s_load_b128 s[52:55], s[24:25], 0x0
	s_add_u32 s22, s22, 48
	s_addc_u32 s23, s23, 0
	s_add_i32 s38, s38, 4
	s_add_u32 s24, s24, 16
	s_addc_u32 s25, s25, 0
	s_cmp_eq_u32 s34, s38
	s_waitcnt lgkmcnt(0)
	v_mul_hi_u32 v8, s41, v7
	s_delay_alu instid0(VALU_DEP_1) | instskip(NEXT) | instid1(VALU_DEP_1)
	v_add_nc_u32_e32 v8, v7, v8
	v_lshrrev_b32_e32 v8, s42, v8
	s_delay_alu instid0(VALU_DEP_1) | instskip(SKIP_1) | instid1(VALU_DEP_2)
	v_mul_hi_u32 v9, s44, v8
	v_mul_lo_u32 v40, v8, s40
	v_add_nc_u32_e32 v9, v8, v9
	s_delay_alu instid0(VALU_DEP_2) | instskip(NEXT) | instid1(VALU_DEP_2)
	v_sub_nc_u32_e32 v40, v7, v40
	v_lshrrev_b32_e32 v9, s45, v9
	s_delay_alu instid0(VALU_DEP_2) | instskip(NEXT) | instid1(VALU_DEP_2)
	v_mul_lo_u32 v40, v40, s52
	v_mul_hi_u32 v10, s47, v9
	v_mul_lo_u32 v41, v9, s43
	s_delay_alu instid0(VALU_DEP_2) | instskip(NEXT) | instid1(VALU_DEP_2)
	v_add_nc_u32_e32 v10, v9, v10
	v_sub_nc_u32_e32 v8, v8, v41
	s_delay_alu instid0(VALU_DEP_2) | instskip(NEXT) | instid1(VALU_DEP_2)
	v_lshrrev_b32_e32 v10, s48, v10
	v_mul_lo_u32 v8, v8, s53
	s_delay_alu instid0(VALU_DEP_2) | instskip(NEXT) | instid1(VALU_DEP_2)
	v_mul_hi_u32 v16, s50, v10
	v_add3_u32 v1, v40, v1, v8
	s_delay_alu instid0(VALU_DEP_2) | instskip(NEXT) | instid1(VALU_DEP_1)
	v_add_nc_u32_e32 v16, v10, v16
	v_lshrrev_b32_e32 v7, s51, v16
	v_mul_lo_u32 v16, v10, s46
	s_delay_alu instid0(VALU_DEP_2) | instskip(NEXT) | instid1(VALU_DEP_2)
	v_mul_lo_u32 v42, v7, s49
	v_sub_nc_u32_e32 v9, v9, v16
	s_delay_alu instid0(VALU_DEP_2) | instskip(NEXT) | instid1(VALU_DEP_2)
	v_sub_nc_u32_e32 v10, v10, v42
	v_mul_lo_u32 v9, v9, s54
	s_delay_alu instid0(VALU_DEP_2) | instskip(NEXT) | instid1(VALU_DEP_1)
	v_mul_lo_u32 v10, v10, s55
	v_add3_u32 v1, v9, v1, v10
	s_cbranch_scc0 .LBB13_39
; %bb.40:                               ;   in Loop: Header=BB13_9 Depth=1
	s_mov_b32 s22, s34
	s_and_not1_b32 vcc_lo, exec_lo, s36
	s_cbranch_vccz .LBB13_43
	s_branch .LBB13_45
.LBB13_41:                              ;   in Loop: Header=BB13_9 Depth=1
                                        ; implicit-def: $vgpr1
	s_branch .LBB13_46
.LBB13_42:                              ;   in Loop: Header=BB13_9 Depth=1
	v_mov_b32_e32 v7, v0
	s_and_not1_b32 vcc_lo, exec_lo, s36
	s_cbranch_vccnz .LBB13_45
.LBB13_43:                              ;   in Loop: Header=BB13_9 Depth=1
	s_lshl_b32 s23, s22, 2
	s_mul_i32 s24, s22, 12
	s_add_u32 s22, s0, s23
	s_addc_u32 s23, s1, 0
	s_add_u32 s24, s18, s24
	s_addc_u32 s25, s19, 0
	s_mov_b32 s38, s31
	.p2align	6
.LBB13_44:                              ;   Parent Loop BB13_9 Depth=1
                                        ; =>  This Inner Loop Header: Depth=2
	s_clause 0x1
	s_load_b64 s[40:41], s[24:25], 0x4
	s_load_b32 s39, s[24:25], 0xc
	s_add_u32 s24, s24, 12
	s_addc_u32 s25, s25, 0
	s_waitcnt lgkmcnt(0)
	v_mul_hi_u32 v8, s41, v7
	s_load_b32 s41, s[22:23], 0x0
	s_add_u32 s22, s22, 4
	s_addc_u32 s23, s23, 0
	s_add_i32 s38, s38, -1
	s_delay_alu instid0(SALU_CYCLE_1) | instskip(NEXT) | instid1(VALU_DEP_1)
	s_cmp_lg_u32 s38, 0
	v_add_nc_u32_e32 v8, v7, v8
	s_delay_alu instid0(VALU_DEP_1) | instskip(NEXT) | instid1(VALU_DEP_1)
	v_lshrrev_b32_e32 v10, s39, v8
	v_mul_lo_u32 v8, v10, s40
	s_delay_alu instid0(VALU_DEP_1) | instskip(SKIP_1) | instid1(VALU_DEP_1)
	v_sub_nc_u32_e32 v7, v7, v8
	s_waitcnt lgkmcnt(0)
	v_mad_u64_u32 v[8:9], null, v7, s41, v[1:2]
	v_mov_b32_e32 v7, v10
	s_delay_alu instid0(VALU_DEP_2)
	v_mov_b32_e32 v1, v8
	s_cbranch_scc1 .LBB13_44
.LBB13_45:                              ;   in Loop: Header=BB13_9 Depth=1
	s_cbranch_execnz .LBB13_7
.LBB13_46:                              ;   in Loop: Header=BB13_9 Depth=1
	v_mul_hi_u32 v1, v0, s6
	s_and_not1_b32 vcc_lo, exec_lo, s4
	s_delay_alu instid0(VALU_DEP_1) | instskip(NEXT) | instid1(VALU_DEP_1)
	v_add_nc_u32_e32 v1, v1, v0
	v_lshrrev_b32_e32 v7, s7, v1
	s_delay_alu instid0(VALU_DEP_1) | instskip(NEXT) | instid1(VALU_DEP_1)
	v_mul_lo_u32 v1, v7, s5
	v_sub_nc_u32_e32 v0, v0, v1
	s_delay_alu instid0(VALU_DEP_1)
	v_mul_lo_u32 v1, v0, s20
	s_cbranch_vccnz .LBB13_7
; %bb.47:                               ;   in Loop: Header=BB13_9 Depth=1
	v_mul_hi_u32 v0, s9, v7
	s_delay_alu instid0(VALU_DEP_1) | instskip(NEXT) | instid1(VALU_DEP_1)
	v_add_nc_u32_e32 v0, v7, v0
	v_lshrrev_b32_e32 v0, s10, v0
	s_delay_alu instid0(VALU_DEP_1) | instskip(NEXT) | instid1(VALU_DEP_1)
	v_mul_lo_u32 v0, v0, s8
	v_sub_nc_u32_e32 v0, v7, v0
	s_delay_alu instid0(VALU_DEP_1) | instskip(NEXT) | instid1(VALU_DEP_1)
	v_mad_u64_u32 v[7:8], null, v0, s21, v[1:2]
	v_mov_b32_e32 v1, v7
	s_branch .LBB13_7
.LBB13_48:
	s_endpgm
.LBB13_49:
                                        ; implicit-def: $sgpr2_sgpr3
	s_branch .LBB13_4
	.section	.rodata,"a",@progbits
	.p2align	6, 0x0
	.amdhsa_kernel _ZN2at6native12_GLOBAL__N_143distribution_elementwise_grid_stride_kernelIfLi4EZNS0_9templates4cuda21uniform_and_transformIN3c108BFloat16EfPNS_17CUDAGeneratorImplEZZZNS4_14uniform_kernelIS9_EEvRNS_18TensorIteratorBaseEddT_ENKUlvE_clEvENKUlvE2_clEvEUlfE_EEvSC_T1_T2_EUlP25hiprandStatePhilox4_32_10E_ZNS1_27distribution_nullary_kernelIS7_f15HIP_vector_typeIdLj2EES9_SL_SG_EEvSC_SI_RKT3_T4_EUlifE0_EEvlNS_15PhiloxCudaStateESH_SI_
		.amdhsa_group_segment_fixed_size 0
		.amdhsa_private_segment_fixed_size 0
		.amdhsa_kernarg_size 584
		.amdhsa_user_sgpr_count 15
		.amdhsa_user_sgpr_dispatch_ptr 0
		.amdhsa_user_sgpr_queue_ptr 0
		.amdhsa_user_sgpr_kernarg_segment_ptr 1
		.amdhsa_user_sgpr_dispatch_id 0
		.amdhsa_user_sgpr_private_segment_size 0
		.amdhsa_wavefront_size32 1
		.amdhsa_uses_dynamic_stack 0
		.amdhsa_enable_private_segment 0
		.amdhsa_system_sgpr_workgroup_id_x 1
		.amdhsa_system_sgpr_workgroup_id_y 0
		.amdhsa_system_sgpr_workgroup_id_z 0
		.amdhsa_system_sgpr_workgroup_info 0
		.amdhsa_system_vgpr_workitem_id 0
		.amdhsa_next_free_vgpr 44
		.amdhsa_next_free_sgpr 56
		.amdhsa_reserve_vcc 1
		.amdhsa_float_round_mode_32 0
		.amdhsa_float_round_mode_16_64 0
		.amdhsa_float_denorm_mode_32 3
		.amdhsa_float_denorm_mode_16_64 3
		.amdhsa_dx10_clamp 1
		.amdhsa_ieee_mode 1
		.amdhsa_fp16_overflow 0
		.amdhsa_workgroup_processor_mode 1
		.amdhsa_memory_ordered 1
		.amdhsa_forward_progress 0
		.amdhsa_shared_vgpr_count 0
		.amdhsa_exception_fp_ieee_invalid_op 0
		.amdhsa_exception_fp_denorm_src 0
		.amdhsa_exception_fp_ieee_div_zero 0
		.amdhsa_exception_fp_ieee_overflow 0
		.amdhsa_exception_fp_ieee_underflow 0
		.amdhsa_exception_fp_ieee_inexact 0
		.amdhsa_exception_int_div_zero 0
	.end_amdhsa_kernel
	.section	.text._ZN2at6native12_GLOBAL__N_143distribution_elementwise_grid_stride_kernelIfLi4EZNS0_9templates4cuda21uniform_and_transformIN3c108BFloat16EfPNS_17CUDAGeneratorImplEZZZNS4_14uniform_kernelIS9_EEvRNS_18TensorIteratorBaseEddT_ENKUlvE_clEvENKUlvE2_clEvEUlfE_EEvSC_T1_T2_EUlP25hiprandStatePhilox4_32_10E_ZNS1_27distribution_nullary_kernelIS7_f15HIP_vector_typeIdLj2EES9_SL_SG_EEvSC_SI_RKT3_T4_EUlifE0_EEvlNS_15PhiloxCudaStateESH_SI_,"axG",@progbits,_ZN2at6native12_GLOBAL__N_143distribution_elementwise_grid_stride_kernelIfLi4EZNS0_9templates4cuda21uniform_and_transformIN3c108BFloat16EfPNS_17CUDAGeneratorImplEZZZNS4_14uniform_kernelIS9_EEvRNS_18TensorIteratorBaseEddT_ENKUlvE_clEvENKUlvE2_clEvEUlfE_EEvSC_T1_T2_EUlP25hiprandStatePhilox4_32_10E_ZNS1_27distribution_nullary_kernelIS7_f15HIP_vector_typeIdLj2EES9_SL_SG_EEvSC_SI_RKT3_T4_EUlifE0_EEvlNS_15PhiloxCudaStateESH_SI_,comdat
.Lfunc_end13:
	.size	_ZN2at6native12_GLOBAL__N_143distribution_elementwise_grid_stride_kernelIfLi4EZNS0_9templates4cuda21uniform_and_transformIN3c108BFloat16EfPNS_17CUDAGeneratorImplEZZZNS4_14uniform_kernelIS9_EEvRNS_18TensorIteratorBaseEddT_ENKUlvE_clEvENKUlvE2_clEvEUlfE_EEvSC_T1_T2_EUlP25hiprandStatePhilox4_32_10E_ZNS1_27distribution_nullary_kernelIS7_f15HIP_vector_typeIdLj2EES9_SL_SG_EEvSC_SI_RKT3_T4_EUlifE0_EEvlNS_15PhiloxCudaStateESH_SI_, .Lfunc_end13-_ZN2at6native12_GLOBAL__N_143distribution_elementwise_grid_stride_kernelIfLi4EZNS0_9templates4cuda21uniform_and_transformIN3c108BFloat16EfPNS_17CUDAGeneratorImplEZZZNS4_14uniform_kernelIS9_EEvRNS_18TensorIteratorBaseEddT_ENKUlvE_clEvENKUlvE2_clEvEUlfE_EEvSC_T1_T2_EUlP25hiprandStatePhilox4_32_10E_ZNS1_27distribution_nullary_kernelIS7_f15HIP_vector_typeIdLj2EES9_SL_SG_EEvSC_SI_RKT3_T4_EUlifE0_EEvlNS_15PhiloxCudaStateESH_SI_
                                        ; -- End function
	.section	.AMDGPU.csdata,"",@progbits
; Kernel info:
; codeLenInByte = 4080
; NumSgprs: 58
; NumVgprs: 44
; ScratchSize: 0
; MemoryBound: 0
; FloatMode: 240
; IeeeMode: 1
; LDSByteSize: 0 bytes/workgroup (compile time only)
; SGPRBlocks: 7
; VGPRBlocks: 5
; NumSGPRsForWavesPerEU: 58
; NumVGPRsForWavesPerEU: 44
; Occupancy: 16
; WaveLimiterHint : 1
; COMPUTE_PGM_RSRC2:SCRATCH_EN: 0
; COMPUTE_PGM_RSRC2:USER_SGPR: 15
; COMPUTE_PGM_RSRC2:TRAP_HANDLER: 0
; COMPUTE_PGM_RSRC2:TGID_X_EN: 1
; COMPUTE_PGM_RSRC2:TGID_Y_EN: 0
; COMPUTE_PGM_RSRC2:TGID_Z_EN: 0
; COMPUTE_PGM_RSRC2:TIDIG_COMP_CNT: 0
	.section	.text._ZN2at6native12_GLOBAL__N_143distribution_elementwise_grid_stride_kernelIfLi4EZNS0_9templates4cuda21uniform_and_transformIN3c108BFloat16EfPNS_17CUDAGeneratorImplEZZZNS4_14uniform_kernelIS9_EEvRNS_18TensorIteratorBaseEddT_ENKUlvE_clEvENKUlvE2_clEvEUlfE_EEvSC_T1_T2_EUlP25hiprandStatePhilox4_32_10E0_ZNS1_27distribution_nullary_kernelIS7_f15HIP_vector_typeIfLj4EES9_SL_SG_EEvSC_SI_RKT3_T4_EUlifE_EEvlNS_15PhiloxCudaStateESH_SI_,"axG",@progbits,_ZN2at6native12_GLOBAL__N_143distribution_elementwise_grid_stride_kernelIfLi4EZNS0_9templates4cuda21uniform_and_transformIN3c108BFloat16EfPNS_17CUDAGeneratorImplEZZZNS4_14uniform_kernelIS9_EEvRNS_18TensorIteratorBaseEddT_ENKUlvE_clEvENKUlvE2_clEvEUlfE_EEvSC_T1_T2_EUlP25hiprandStatePhilox4_32_10E0_ZNS1_27distribution_nullary_kernelIS7_f15HIP_vector_typeIfLj4EES9_SL_SG_EEvSC_SI_RKT3_T4_EUlifE_EEvlNS_15PhiloxCudaStateESH_SI_,comdat
	.globl	_ZN2at6native12_GLOBAL__N_143distribution_elementwise_grid_stride_kernelIfLi4EZNS0_9templates4cuda21uniform_and_transformIN3c108BFloat16EfPNS_17CUDAGeneratorImplEZZZNS4_14uniform_kernelIS9_EEvRNS_18TensorIteratorBaseEddT_ENKUlvE_clEvENKUlvE2_clEvEUlfE_EEvSC_T1_T2_EUlP25hiprandStatePhilox4_32_10E0_ZNS1_27distribution_nullary_kernelIS7_f15HIP_vector_typeIfLj4EES9_SL_SG_EEvSC_SI_RKT3_T4_EUlifE_EEvlNS_15PhiloxCudaStateESH_SI_ ; -- Begin function _ZN2at6native12_GLOBAL__N_143distribution_elementwise_grid_stride_kernelIfLi4EZNS0_9templates4cuda21uniform_and_transformIN3c108BFloat16EfPNS_17CUDAGeneratorImplEZZZNS4_14uniform_kernelIS9_EEvRNS_18TensorIteratorBaseEddT_ENKUlvE_clEvENKUlvE2_clEvEUlfE_EEvSC_T1_T2_EUlP25hiprandStatePhilox4_32_10E0_ZNS1_27distribution_nullary_kernelIS7_f15HIP_vector_typeIfLj4EES9_SL_SG_EEvSC_SI_RKT3_T4_EUlifE_EEvlNS_15PhiloxCudaStateESH_SI_
	.p2align	8
	.type	_ZN2at6native12_GLOBAL__N_143distribution_elementwise_grid_stride_kernelIfLi4EZNS0_9templates4cuda21uniform_and_transformIN3c108BFloat16EfPNS_17CUDAGeneratorImplEZZZNS4_14uniform_kernelIS9_EEvRNS_18TensorIteratorBaseEddT_ENKUlvE_clEvENKUlvE2_clEvEUlfE_EEvSC_T1_T2_EUlP25hiprandStatePhilox4_32_10E0_ZNS1_27distribution_nullary_kernelIS7_f15HIP_vector_typeIfLj4EES9_SL_SG_EEvSC_SI_RKT3_T4_EUlifE_EEvlNS_15PhiloxCudaStateESH_SI_,@function
_ZN2at6native12_GLOBAL__N_143distribution_elementwise_grid_stride_kernelIfLi4EZNS0_9templates4cuda21uniform_and_transformIN3c108BFloat16EfPNS_17CUDAGeneratorImplEZZZNS4_14uniform_kernelIS9_EEvRNS_18TensorIteratorBaseEddT_ENKUlvE_clEvENKUlvE2_clEvEUlfE_EEvSC_T1_T2_EUlP25hiprandStatePhilox4_32_10E0_ZNS1_27distribution_nullary_kernelIS7_f15HIP_vector_typeIfLj4EES9_SL_SG_EEvSC_SI_RKT3_T4_EUlifE_EEvlNS_15PhiloxCudaStateESH_SI_: ; @_ZN2at6native12_GLOBAL__N_143distribution_elementwise_grid_stride_kernelIfLi4EZNS0_9templates4cuda21uniform_and_transformIN3c108BFloat16EfPNS_17CUDAGeneratorImplEZZZNS4_14uniform_kernelIS9_EEvRNS_18TensorIteratorBaseEddT_ENKUlvE_clEvENKUlvE2_clEvEUlfE_EEvSC_T1_T2_EUlP25hiprandStatePhilox4_32_10E0_ZNS1_27distribution_nullary_kernelIS7_f15HIP_vector_typeIfLj4EES9_SL_SG_EEvSC_SI_RKT3_T4_EUlifE_EEvlNS_15PhiloxCudaStateESH_SI_
; %bb.0:
	s_clause 0x2
	s_load_b64 s[8:9], s[0:1], 0x10
	s_load_b128 s[4:7], s[0:1], 0x0
	s_load_b32 s2, s[0:1], 0x20
	s_waitcnt lgkmcnt(0)
	v_dual_mov_b32 v2, s8 :: v_dual_mov_b32 v3, s9
	v_dual_mov_b32 v12, s7 :: v_dual_mov_b32 v11, s6
	s_bitcmp0_b32 s2, 0
	s_mov_b32 s2, 0
	s_cbranch_scc1 .LBB14_2
; %bb.1:
	v_dual_mov_b32 v1, s8 :: v_dual_mov_b32 v2, s9
	v_dual_mov_b32 v4, s6 :: v_dual_mov_b32 v5, s7
	s_load_b64 s[6:7], s[0:1], 0x18
	flat_load_b64 v[2:3], v[1:2]
	flat_load_b64 v[11:12], v[4:5]
	s_waitcnt vmcnt(1) lgkmcnt(0)
	v_add_co_u32 v2, vcc_lo, v2, s6
	v_add_co_ci_u32_e32 v3, vcc_lo, s7, v3, vcc_lo
.LBB14_2:
	s_clause 0x1
	s_load_b32 s3, s[0:1], 0x54
	s_load_b32 s13, s[0:1], 0x48
	s_waitcnt lgkmcnt(0)
	s_and_b32 s12, s3, 0xffff
	s_add_u32 s8, s4, -1
	s_mul_i32 s6, s13, s12
	s_addc_u32 s3, s5, -1
	s_lshl_b32 s7, s6, 2
	s_cmp_lg_u64 s[2:3], 0
	s_cbranch_scc0 .LBB14_27
; %bb.3:
	v_cvt_f32_ubyte0_e32 v1, 0
	v_cvt_f32_u32_e32 v4, s7
	s_sub_u32 s10, 0, s7
	s_subb_u32 s11, 0, 0
	s_delay_alu instid0(VALU_DEP_1) | instskip(NEXT) | instid1(VALU_DEP_1)
	v_fmamk_f32 v1, v1, 0x4f800000, v4
	v_rcp_f32_e32 v1, v1
	s_waitcnt_depctr 0xfff
	v_mul_f32_e32 v1, 0x5f7ffffc, v1
	s_delay_alu instid0(VALU_DEP_1) | instskip(NEXT) | instid1(VALU_DEP_1)
	v_mul_f32_e32 v4, 0x2f800000, v1
	v_trunc_f32_e32 v4, v4
	s_delay_alu instid0(VALU_DEP_1) | instskip(SKIP_1) | instid1(VALU_DEP_2)
	v_fmamk_f32 v1, v4, 0xcf800000, v1
	v_cvt_u32_f32_e32 v4, v4
	v_cvt_u32_f32_e32 v1, v1
	s_delay_alu instid0(VALU_DEP_2) | instskip(NEXT) | instid1(VALU_DEP_2)
	v_readfirstlane_b32 s2, v4
	v_readfirstlane_b32 s9, v1
	s_delay_alu instid0(VALU_DEP_2) | instskip(NEXT) | instid1(VALU_DEP_1)
	s_mul_i32 s14, s10, s2
	s_mul_hi_u32 s17, s10, s9
	s_mul_i32 s16, s11, s9
	s_add_i32 s14, s17, s14
	s_mul_i32 s18, s10, s9
	s_add_i32 s14, s14, s16
	s_mul_hi_u32 s17, s9, s18
	s_mul_hi_u32 s19, s2, s18
	s_mul_i32 s16, s2, s18
	s_mul_hi_u32 s18, s9, s14
	s_mul_i32 s9, s9, s14
	s_mul_hi_u32 s20, s2, s14
	s_add_u32 s9, s17, s9
	s_addc_u32 s17, 0, s18
	s_add_u32 s9, s9, s16
	s_mul_i32 s14, s2, s14
	s_addc_u32 s9, s17, s19
	s_addc_u32 s16, s20, 0
	s_add_u32 s9, s9, s14
	s_addc_u32 s14, 0, s16
	v_add_co_u32 v1, s9, v1, s9
	s_delay_alu instid0(VALU_DEP_1) | instskip(SKIP_1) | instid1(VALU_DEP_1)
	s_cmp_lg_u32 s9, 0
	s_addc_u32 s2, s2, s14
	v_readfirstlane_b32 s9, v1
	s_mul_i32 s14, s10, s2
	s_delay_alu instid0(VALU_DEP_1)
	s_mul_hi_u32 s16, s10, s9
	s_mul_i32 s11, s11, s9
	s_add_i32 s14, s16, s14
	s_mul_i32 s10, s10, s9
	s_add_i32 s14, s14, s11
	s_mul_hi_u32 s16, s2, s10
	s_mul_i32 s17, s2, s10
	s_mul_hi_u32 s10, s9, s10
	s_mul_hi_u32 s18, s9, s14
	s_mul_i32 s9, s9, s14
	s_mul_hi_u32 s11, s2, s14
	s_add_u32 s9, s10, s9
	s_addc_u32 s10, 0, s18
	s_add_u32 s9, s9, s17
	s_mul_i32 s14, s2, s14
	s_addc_u32 s9, s10, s16
	s_addc_u32 s10, s11, 0
	s_add_u32 s9, s9, s14
	s_addc_u32 s10, 0, s10
	v_add_co_u32 v1, s9, v1, s9
	s_delay_alu instid0(VALU_DEP_1) | instskip(SKIP_2) | instid1(VALU_DEP_1)
	s_cmp_lg_u32 s9, 0
	s_addc_u32 s9, s2, s10
	s_ashr_i32 s10, s3, 31
	v_readfirstlane_b32 s14, v1
	s_add_u32 s2, s8, s10
	s_mov_b32 s11, s10
	s_addc_u32 s3, s3, s10
	s_delay_alu instid0(SALU_CYCLE_1) | instskip(NEXT) | instid1(SALU_CYCLE_1)
	s_xor_b64 s[2:3], s[2:3], s[10:11]
	s_mul_i32 s17, s2, s9
	s_mul_hi_u32 s18, s2, s14
	s_mul_hi_u32 s16, s2, s9
	;; [unrolled: 1-line block ×3, first 2 shown]
	s_mul_i32 s14, s3, s14
	s_add_u32 s17, s18, s17
	s_addc_u32 s16, 0, s16
	s_mul_hi_u32 s19, s3, s9
	s_add_u32 s14, s17, s14
	s_mul_i32 s9, s3, s9
	s_addc_u32 s14, s16, s20
	s_addc_u32 s16, s19, 0
	s_add_u32 s9, s14, s9
	s_addc_u32 s14, 0, s16
	s_mul_i32 s17, s7, s9
	s_add_u32 s16, s9, 1
	v_sub_co_u32 v1, s2, s2, s17
	s_mul_hi_u32 s17, s7, s9
	s_addc_u32 s18, s14, 0
	s_mul_i32 s19, s7, s14
	s_delay_alu instid0(VALU_DEP_1)
	v_sub_co_u32 v4, s20, v1, s7
	s_add_u32 s21, s9, 2
	s_addc_u32 s22, s14, 0
	s_add_i32 s17, s17, s19
	s_cmp_lg_u32 s2, 0
	v_readfirstlane_b32 s2, v4
	s_subb_u32 s3, s3, s17
	s_cmp_lg_u32 s20, 0
	s_subb_u32 s17, s3, 0
	s_delay_alu instid0(VALU_DEP_1) | instskip(SKIP_4) | instid1(SALU_CYCLE_1)
	s_cmp_ge_u32 s2, s7
	s_cselect_b32 s2, -1, 0
	s_cmp_eq_u32 s17, 0
	v_readfirstlane_b32 s17, v1
	s_cselect_b32 s2, s2, -1
	s_cmp_lg_u32 s2, 0
	s_cselect_b32 s2, s21, s16
	s_cselect_b32 s16, s22, s18
	s_cmp_ge_u32 s17, s7
	s_cselect_b32 s17, -1, 0
	s_cmp_eq_u32 s3, 0
	s_cselect_b32 s3, s17, -1
	s_delay_alu instid0(SALU_CYCLE_1) | instskip(SKIP_2) | instid1(SALU_CYCLE_1)
	s_cmp_lg_u32 s3, 0
	s_cselect_b32 s3, s16, s14
	s_cselect_b32 s2, s2, s9
	s_xor_b64 s[2:3], s[2:3], s[10:11]
	s_delay_alu instid0(SALU_CYCLE_1)
	s_sub_u32 s2, s2, s10
	s_subb_u32 s3, s3, s10
	s_cbranch_execnz .LBB14_5
.LBB14_4:
	v_cvt_f32_u32_e32 v1, s7
	s_sub_i32 s3, 0, s7
	s_delay_alu instid0(VALU_DEP_1) | instskip(SKIP_2) | instid1(VALU_DEP_1)
	v_rcp_iflag_f32_e32 v1, v1
	s_waitcnt_depctr 0xfff
	v_mul_f32_e32 v1, 0x4f7ffffe, v1
	v_cvt_u32_f32_e32 v1, v1
	s_delay_alu instid0(VALU_DEP_1) | instskip(NEXT) | instid1(VALU_DEP_1)
	v_readfirstlane_b32 s2, v1
	s_mul_i32 s3, s3, s2
	s_delay_alu instid0(SALU_CYCLE_1) | instskip(NEXT) | instid1(SALU_CYCLE_1)
	s_mul_hi_u32 s3, s2, s3
	s_add_i32 s2, s2, s3
	s_delay_alu instid0(SALU_CYCLE_1) | instskip(NEXT) | instid1(SALU_CYCLE_1)
	s_mul_hi_u32 s2, s8, s2
	s_mul_i32 s3, s2, s7
	s_delay_alu instid0(SALU_CYCLE_1)
	s_sub_i32 s3, s8, s3
	s_add_i32 s8, s2, 1
	s_sub_i32 s9, s3, s7
	s_cmp_ge_u32 s3, s7
	s_cselect_b32 s2, s8, s2
	s_cselect_b32 s3, s9, s3
	s_add_i32 s8, s2, 1
	s_cmp_ge_u32 s3, s7
	s_mov_b32 s3, 0
	s_cselect_b32 s2, s8, s2
.LBB14_5:
	v_mov_b32_e32 v1, 0
	s_add_u32 s2, s2, 1
	s_addc_u32 s3, s3, 0
	s_mul_hi_u32 s8, s6, s2
	s_mul_i32 s3, s6, s3
	v_mad_u64_u32 v[13:14], null, s12, s15, v[0:1]
	s_mul_hi_u32 s9, s13, s12
	s_add_i32 s3, s8, s3
	s_mul_i32 s9, s9, s2
	s_mul_i32 s2, s6, s2
	s_add_i32 s3, s3, s9
	s_mov_b32 s8, exec_lo
	s_lshl_b64 s[2:3], s[2:3], 2
	s_delay_alu instid0(SALU_CYCLE_1)
	v_cmpx_gt_i64_e64 s[2:3], v[13:14]
	s_cbranch_execz .LBB14_26
; %bb.6:
	v_alignbit_b32 v17, v3, v2, 2
	v_mad_u64_u32 v[6:7], null, 0xcd9e8d57, v13, 0
	v_lshrrev_b32_e32 v18, 2, v3
	s_waitcnt vmcnt(0)
	v_dual_mov_b32 v38, v12 :: v_dual_and_b32 v25, 3, v2
	v_mad_u64_u32 v[4:5], null, 0xd2511f53, v17, 0
	v_add_co_u32 v20, null, 0x9e3779b9, v11
	v_xor3_b32 v3, v11, v7, v18
	s_delay_alu instid0(VALU_DEP_4) | instskip(SKIP_2) | instid1(VALU_DEP_4)
	v_add_co_u32 v19, null, 0xbb67ae85, v38
	v_add_co_u32 v21, null, 0x3c6ef372, v11
	v_xor_b32_e32 v1, v5, v12
	v_mad_u64_u32 v[7:8], null, 0xd2511f53, v3, 0
	v_add_co_u32 v22, null, 0x76cf5d0a, v38
	s_delay_alu instid0(VALU_DEP_3) | instskip(SKIP_2) | instid1(VALU_DEP_3)
	v_xor_b32_e32 v1, v1, v14
	v_add_co_u32 v23, null, 0x32370b8f, v38
	v_add_co_u32 v24, null, 0xdaa66d2b, v11
	v_mad_u64_u32 v[9:10], null, 0xcd9e8d57, v1, 0
	v_xor3_b32 v1, v19, v8, v4
	v_add_co_u32 v26, null, 0x78dde6e4, v11
	v_add_co_u32 v28, null, 0xed9eba14, v38
	s_delay_alu instid0(VALU_DEP_3) | instskip(SKIP_3) | instid1(VALU_DEP_3)
	v_mad_u64_u32 v[3:4], null, 0xcd9e8d57, v1, 0
	v_xor3_b32 v8, v20, v10, v6
	v_add_co_u32 v31, null, 0xa9066899, v38
	v_add_co_u32 v32, null, 0x1715609d, v11
	v_mad_u64_u32 v[5:6], null, 0xd2511f53, v8, 0
	v_xor3_b32 v1, v21, v4, v9
	v_add_co_u32 v33, null, 0xb54cda56, v11
	v_add_co_u32 v35, null, 0x646e171e, v38
	;; [unrolled: 1-line block ×3, first 2 shown]
	v_xor3_b32 v4, v22, v6, v7
	v_mad_u64_u32 v[6:7], null, 0xd2511f53, v1, 0
	v_add_co_u32 v37, null, 0x1fd5c5a3, v38
	s_delay_alu instid0(VALU_DEP_3) | instskip(SKIP_2) | instid1(VALU_DEP_3)
	v_mad_u64_u32 v[8:9], null, 0xcd9e8d57, v4, 0
	s_add_i32 s18, s15, s13
	s_mul_i32 s14, s13, 3
	v_xor3_b32 v4, v23, v7, v5
	s_add_i32 s14, s15, s14
	s_clause 0x1
	s_load_b128 s[8:11], s[0:1], 0x30
	s_load_b32 s16, s[0:1], 0x40
	v_add_co_u32 v34, null, 0xf1bbcdc8, v11
	v_xor3_b32 v5, v24, v9, v3
	v_mad_u64_u32 v[1:2], null, 0xcd9e8d57, v4, 0
	v_add_co_u32 v38, null, 0xdb3d7428, v38
	s_delay_alu instid0(VALU_DEP_3) | instskip(SKIP_2) | instid1(VALU_DEP_4)
	v_mad_u64_u32 v[3:4], null, 0xd2511f53, v5, 0
	s_lshl_b32 s17, s13, 1
	v_dual_mov_b32 v36, v13 :: v_dual_add_nc_u32 v27, 0x8ff34781, v11
	v_xor3_b32 v2, v26, v2, v8
	v_add_nc_u32_e32 v29, 0x96a522ad, v12
	s_mov_b32 s0, 0
	s_delay_alu instid0(VALU_DEP_4)
	v_xor3_b32 v8, v28, v4, v6
	s_lshl_b32 s1, s6, 1
	v_mad_u64_u32 v[4:5], null, 0xd2511f53, v2, 0
	s_waitcnt lgkmcnt(0)
	s_mul_i32 s13, s13, s10
	v_mad_u64_u32 v[6:7], null, 0xcd9e8d57, v8, 0
	s_mul_i32 s13, s13, s12
	s_delay_alu instid0(VALU_DEP_2) | instskip(NEXT) | instid1(VALU_DEP_2)
	v_xor3_b32 v3, v31, v5, v3
	v_xor3_b32 v5, v32, v7, v1
	s_delay_alu instid0(VALU_DEP_2) | instskip(NEXT) | instid1(VALU_DEP_2)
	v_mad_u64_u32 v[1:2], null, 0xcd9e8d57, v3, 0
	v_mad_u64_u32 v[7:8], null, 0xd2511f53, v5, 0
	s_delay_alu instid0(VALU_DEP_2) | instskip(NEXT) | instid1(VALU_DEP_3)
	v_xor3_b32 v5, v33, v2, v6
	v_mad_u64_u32 v[9:10], null, s15, s12, v[0:1]
	s_delay_alu instid0(VALU_DEP_3) | instskip(SKIP_1) | instid1(VALU_DEP_4)
	v_xor3_b32 v6, v35, v8, v4
	v_mad_u64_u32 v[15:16], null, s18, s12, v[0:1]
	v_mad_u64_u32 v[2:3], null, 0xd2511f53, v5, 0
	s_delay_alu instid0(VALU_DEP_3) | instskip(SKIP_2) | instid1(VALU_DEP_3)
	v_mad_u64_u32 v[4:5], null, 0xcd9e8d57, v6, 0
	s_add_i32 s15, s15, s17
	v_mul_lo_u32 v39, s10, v9
	v_xor3_b32 v3, v37, v3, v7
	s_delay_alu instid0(VALU_DEP_3) | instskip(NEXT) | instid1(VALU_DEP_1)
	v_xor3_b32 v1, v30, v5, v1
	v_mad_u64_u32 v[5:6], null, s14, s12, v[0:1]
	s_delay_alu instid0(VALU_DEP_3) | instskip(SKIP_2) | instid1(VALU_DEP_4)
	v_mad_u64_u32 v[6:7], null, 0xcd9e8d57, v3, 0
	v_mad_u64_u32 v[43:44], null, 0xd2511f53, v1, 0
	;; [unrolled: 1-line block ×3, first 2 shown]
	v_mul_lo_u32 v40, s10, v5
	v_mul_lo_u32 v42, s10, v15
	v_xor3_b32 v0, v34, v7, v4
	s_and_b32 s14, s16, 0xffff
	v_xor3_b32 v7, v38, v44, v2
	s_lshl_b32 s15, s16, 16
	v_mul_lo_u32 v41, s10, v41
	v_mad_u64_u32 v[3:4], null, 0xd2511f53, v0, 0
	s_delay_alu instid0(VALU_DEP_3) | instskip(SKIP_4) | instid1(VALU_DEP_1)
	v_mad_u64_u32 v[1:2], null, 0xcd9e8d57, v7, 0
	s_pack_lh_b32_b16 s16, 0, s16
	s_mul_i32 s10, s6, 3
	s_lshl_b32 s12, s13, 2
	s_mov_b32 s13, 0
	v_xor3_b32 v0, v2, v6, v27
	s_delay_alu instid0(VALU_DEP_3)
	v_xor3_b32 v2, v4, v43, v29
	v_mov_b32_e32 v43, v14
	s_branch .LBB14_8
.LBB14_7:                               ;   in Loop: Header=BB14_8 Depth=1
	s_or_b32 exec_lo, exec_lo, s17
	v_add_co_u32 v13, vcc_lo, v13, s7
	v_add_co_ci_u32_e32 v14, vcc_lo, 0, v14, vcc_lo
	v_mov_b32_e32 v7, v15
	v_dual_mov_b32 v0, v4 :: v_dual_mov_b32 v1, v5
	s_delay_alu instid0(VALU_DEP_3) | instskip(NEXT) | instid1(VALU_DEP_3)
	v_cmp_le_i64_e32 vcc_lo, s[2:3], v[13:14]
	v_dual_mov_b32 v2, v6 :: v_dual_mov_b32 v3, v7
	s_add_i32 s13, s13, s12
	s_waitcnt_vscnt null, 0x0
	s_barrier
	s_or_b32 s0, vcc_lo, s0
	buffer_gl0_inv
	s_and_not1_b32 exec_lo, exec_lo, s0
	s_cbranch_execz .LBB14_26
.LBB14_8:                               ; =>This Inner Loop Header: Depth=1
	v_add_co_u32 v17, vcc_lo, v17, 1
	s_delay_alu instid0(VALU_DEP_1) | instskip(SKIP_2) | instid1(VALU_DEP_1)
	v_cndmask_b32_e64 v4, 0, 1, vcc_lo
	v_add_co_ci_u32_e32 v18, vcc_lo, 0, v18, vcc_lo
	s_mov_b32 s17, exec_lo
	v_cmp_eq_u32_e32 vcc_lo, 0, v18
	s_delay_alu instid0(VALU_DEP_3) | instskip(NEXT) | instid1(VALU_DEP_1)
	v_cndmask_b32_e32 v4, 0, v4, vcc_lo
	v_add_nc_u32_e32 v36, v4, v36
	s_delay_alu instid0(VALU_DEP_1) | instskip(SKIP_2) | instid1(VALU_DEP_2)
	v_cmp_eq_u32_e32 vcc_lo, 0, v36
	v_mad_u64_u32 v[6:7], null, 0xcd9e8d57, v36, 0
	v_cndmask_b32_e32 v4, 0, v4, vcc_lo
	v_xor3_b32 v9, v7, v11, v18
	s_delay_alu instid0(VALU_DEP_2) | instskip(SKIP_1) | instid1(VALU_DEP_3)
	v_add_nc_u32_e32 v43, v4, v43
	v_mad_u64_u32 v[4:5], null, 0xd2511f53, v17, 0
	v_mad_u64_u32 v[7:8], null, 0xd2511f53, v9, 0
	s_delay_alu instid0(VALU_DEP_2) | instskip(NEXT) | instid1(VALU_DEP_2)
	v_xor_b32_e32 v5, v5, v12
	v_xor3_b32 v8, v19, v8, v4
	s_delay_alu instid0(VALU_DEP_2) | instskip(NEXT) | instid1(VALU_DEP_1)
	v_xor_b32_e32 v5, v43, v5
	v_mad_u64_u32 v[9:10], null, 0xcd9e8d57, v5, 0
	s_delay_alu instid0(VALU_DEP_3) | instskip(NEXT) | instid1(VALU_DEP_2)
	v_mad_u64_u32 v[4:5], null, 0xcd9e8d57, v8, 0
	v_xor3_b32 v6, v20, v10, v6
	s_delay_alu instid0(VALU_DEP_2) | instskip(NEXT) | instid1(VALU_DEP_2)
	v_xor3_b32 v8, v21, v5, v9
	v_mad_u64_u32 v[15:16], null, 0xd2511f53, v6, 0
	s_delay_alu instid0(VALU_DEP_2) | instskip(NEXT) | instid1(VALU_DEP_2)
	v_mad_u64_u32 v[5:6], null, 0xd2511f53, v8, 0
	v_xor3_b32 v9, v22, v16, v7
	s_delay_alu instid0(VALU_DEP_2) | instskip(NEXT) | instid1(VALU_DEP_2)
	v_xor3_b32 v6, v23, v6, v15
	v_mad_u64_u32 v[7:8], null, 0xcd9e8d57, v9, 0
	s_delay_alu instid0(VALU_DEP_1) | instskip(NEXT) | instid1(VALU_DEP_3)
	v_xor3_b32 v4, v24, v8, v4
	v_mad_u64_u32 v[8:9], null, 0xcd9e8d57, v6, 0
	s_delay_alu instid0(VALU_DEP_2) | instskip(NEXT) | instid1(VALU_DEP_2)
	v_mad_u64_u32 v[15:16], null, 0xd2511f53, v4, 0
	v_xor3_b32 v6, v26, v9, v7
	s_delay_alu instid0(VALU_DEP_2) | instskip(NEXT) | instid1(VALU_DEP_2)
	v_xor3_b32 v9, v28, v16, v5
	v_mad_u64_u32 v[4:5], null, 0xd2511f53, v6, 0
	s_delay_alu instid0(VALU_DEP_2) | instskip(NEXT) | instid1(VALU_DEP_2)
	v_mad_u64_u32 v[6:7], null, 0xcd9e8d57, v9, 0
	v_xor3_b32 v5, v31, v5, v15
	s_delay_alu instid0(VALU_DEP_2) | instskip(NEXT) | instid1(VALU_DEP_2)
	;; [unrolled: 6-line block ×6, first 2 shown]
	v_xor3_b32 v4, v6, v7, v27
	v_mov_b32_e32 v6, v10
	v_cmpx_lt_i32_e32 1, v25
	s_xor_b32 s17, exec_lo, s17
	s_cbranch_execnz .LBB14_18
; %bb.9:                                ;   in Loop: Header=BB14_8 Depth=1
	s_and_not1_saveexec_b32 s17, s17
	s_cbranch_execnz .LBB14_23
.LBB14_10:                              ;   in Loop: Header=BB14_8 Depth=1
	s_or_b32 exec_lo, exec_lo, s17
	s_delay_alu instid0(SALU_CYCLE_1)
	s_mov_b32 s17, exec_lo
	v_cmpx_gt_i64_e64 s[4:5], v[13:14]
	s_cbranch_execz .LBB14_12
.LBB14_11:                              ;   in Loop: Header=BB14_8 Depth=1
	v_cvt_f32_u32_e32 v0, v0
	v_add_nc_u32_e32 v8, s13, v39
	s_delay_alu instid0(VALU_DEP_2) | instskip(NEXT) | instid1(VALU_DEP_2)
	v_fmaak_f32 v0, 0x2f800000, v0, 0x2f800000
	v_ashrrev_i32_e32 v9, 31, v8
	s_delay_alu instid0(VALU_DEP_2) | instskip(NEXT) | instid1(VALU_DEP_1)
	v_fma_f32 v0, s11, v0, s15
	v_bfe_u32 v7, v0, 16, 1
	v_cmp_o_f32_e32 vcc_lo, v0, v0
	s_delay_alu instid0(VALU_DEP_2) | instskip(NEXT) | instid1(VALU_DEP_1)
	v_add3_u32 v7, v0, v7, 0x7fff
	v_lshrrev_b32_e32 v7, 16, v7
	s_delay_alu instid0(VALU_DEP_1) | instskip(SKIP_2) | instid1(VALU_DEP_3)
	v_cndmask_b32_e32 v0, 0x7fc0, v7, vcc_lo
	v_add_co_u32 v7, vcc_lo, s8, v8
	v_add_co_ci_u32_e32 v8, vcc_lo, s9, v9, vcc_lo
	v_lshlrev_b32_e32 v10, 16, v0
	s_delay_alu instid0(VALU_DEP_1)
	v_cmp_eq_f32_e32 vcc_lo, s16, v10
	v_cndmask_b32_e64 v0, v0, s14, vcc_lo
	global_store_b16 v[7:8], v0, off
.LBB14_12:                              ;   in Loop: Header=BB14_8 Depth=1
	s_or_b32 exec_lo, exec_lo, s17
	v_add_co_u32 v7, vcc_lo, s6, v13
	v_add_co_ci_u32_e32 v8, vcc_lo, 0, v14, vcc_lo
	s_mov_b32 s17, exec_lo
	s_delay_alu instid0(VALU_DEP_1)
	v_cmpx_gt_i64_e64 s[4:5], v[7:8]
	s_cbranch_execz .LBB14_14
; %bb.13:                               ;   in Loop: Header=BB14_8 Depth=1
	v_cvt_f32_u32_e32 v0, v1
	s_delay_alu instid0(VALU_DEP_1) | instskip(NEXT) | instid1(VALU_DEP_1)
	v_dual_fmaak_f32 v0, 0x2f800000, v0, 0x2f800000 :: v_dual_add_nc_u32 v7, s13, v42
	v_fma_f32 v0, s11, v0, s15
	s_delay_alu instid0(VALU_DEP_1) | instskip(SKIP_1) | instid1(VALU_DEP_2)
	v_bfe_u32 v1, v0, 16, 1
	v_cmp_o_f32_e32 vcc_lo, v0, v0
	v_add3_u32 v1, v0, v1, 0x7fff
	s_delay_alu instid0(VALU_DEP_1) | instskip(NEXT) | instid1(VALU_DEP_1)
	v_lshrrev_b32_e32 v1, 16, v1
	v_cndmask_b32_e32 v8, 0x7fc0, v1, vcc_lo
	v_ashrrev_i32_e32 v1, 31, v7
	v_add_co_u32 v0, vcc_lo, s8, v7
	s_delay_alu instid0(VALU_DEP_3) | instskip(NEXT) | instid1(VALU_DEP_3)
	v_lshlrev_b32_e32 v9, 16, v8
	v_add_co_ci_u32_e32 v1, vcc_lo, s9, v1, vcc_lo
	s_delay_alu instid0(VALU_DEP_2)
	v_cmp_eq_f32_e32 vcc_lo, s16, v9
	v_cndmask_b32_e64 v7, v8, s14, vcc_lo
	global_store_b16 v[0:1], v7, off
.LBB14_14:                              ;   in Loop: Header=BB14_8 Depth=1
	s_or_b32 exec_lo, exec_lo, s17
	v_add_co_u32 v0, vcc_lo, s1, v13
	v_add_co_ci_u32_e32 v1, vcc_lo, 0, v14, vcc_lo
	s_mov_b32 s17, exec_lo
	s_delay_alu instid0(VALU_DEP_1)
	v_cmpx_gt_i64_e64 s[4:5], v[0:1]
	s_cbranch_execz .LBB14_16
; %bb.15:                               ;   in Loop: Header=BB14_8 Depth=1
	v_cvt_f32_u32_e32 v0, v2
	v_add_nc_u32_e32 v2, s13, v41
	s_delay_alu instid0(VALU_DEP_2) | instskip(NEXT) | instid1(VALU_DEP_1)
	v_fmaak_f32 v0, 0x2f800000, v0, 0x2f800000
	v_fma_f32 v0, s11, v0, s15
	s_delay_alu instid0(VALU_DEP_1) | instskip(SKIP_1) | instid1(VALU_DEP_2)
	v_bfe_u32 v1, v0, 16, 1
	v_cmp_o_f32_e32 vcc_lo, v0, v0
	v_add3_u32 v1, v0, v1, 0x7fff
	s_delay_alu instid0(VALU_DEP_1) | instskip(NEXT) | instid1(VALU_DEP_1)
	v_lshrrev_b32_e32 v1, 16, v1
	v_cndmask_b32_e32 v7, 0x7fc0, v1, vcc_lo
	v_ashrrev_i32_e32 v1, 31, v2
	v_add_co_u32 v0, vcc_lo, s8, v2
	s_delay_alu instid0(VALU_DEP_3) | instskip(NEXT) | instid1(VALU_DEP_3)
	v_lshlrev_b32_e32 v8, 16, v7
	v_add_co_ci_u32_e32 v1, vcc_lo, s9, v1, vcc_lo
	s_delay_alu instid0(VALU_DEP_2)
	v_cmp_eq_f32_e32 vcc_lo, s16, v8
	v_cndmask_b32_e64 v2, v7, s14, vcc_lo
	global_store_b16 v[0:1], v2, off
.LBB14_16:                              ;   in Loop: Header=BB14_8 Depth=1
	s_or_b32 exec_lo, exec_lo, s17
	v_add_co_u32 v0, vcc_lo, s10, v13
	v_add_co_ci_u32_e32 v1, vcc_lo, 0, v14, vcc_lo
	s_mov_b32 s17, exec_lo
	s_delay_alu instid0(VALU_DEP_1)
	v_cmpx_gt_i64_e64 s[4:5], v[0:1]
	s_cbranch_execz .LBB14_7
; %bb.17:                               ;   in Loop: Header=BB14_8 Depth=1
	v_cvt_f32_u32_e32 v0, v3
	v_add_nc_u32_e32 v2, s13, v40
	s_delay_alu instid0(VALU_DEP_2) | instskip(NEXT) | instid1(VALU_DEP_1)
	v_fmaak_f32 v0, 0x2f800000, v0, 0x2f800000
	v_fma_f32 v0, s11, v0, s15
	s_delay_alu instid0(VALU_DEP_1) | instskip(SKIP_1) | instid1(VALU_DEP_2)
	v_bfe_u32 v1, v0, 16, 1
	v_cmp_o_f32_e32 vcc_lo, v0, v0
	v_add3_u32 v1, v0, v1, 0x7fff
	s_delay_alu instid0(VALU_DEP_1) | instskip(NEXT) | instid1(VALU_DEP_1)
	v_lshrrev_b32_e32 v1, 16, v1
	v_cndmask_b32_e32 v3, 0x7fc0, v1, vcc_lo
	v_ashrrev_i32_e32 v1, 31, v2
	v_add_co_u32 v0, vcc_lo, s8, v2
	s_delay_alu instid0(VALU_DEP_3) | instskip(NEXT) | instid1(VALU_DEP_3)
	v_lshlrev_b32_e32 v7, 16, v3
	v_add_co_ci_u32_e32 v1, vcc_lo, s9, v1, vcc_lo
	s_delay_alu instid0(VALU_DEP_2)
	v_cmp_eq_f32_e32 vcc_lo, s16, v7
	v_cndmask_b32_e64 v2, v3, s14, vcc_lo
	global_store_b16 v[0:1], v2, off
	s_branch .LBB14_7
.LBB14_18:                              ;   in Loop: Header=BB14_8 Depth=1
	s_mov_b32 s18, exec_lo
	v_cmpx_lt_i32_e32 2, v25
	s_xor_b32 s18, exec_lo, s18
; %bb.19:                               ;   in Loop: Header=BB14_8 Depth=1
	v_dual_mov_b32 v7, v3 :: v_dual_mov_b32 v8, v4
	v_mov_b32_e32 v9, v5
	s_delay_alu instid0(VALU_DEP_2) | instskip(NEXT) | instid1(VALU_DEP_2)
	v_dual_mov_b32 v0, v7 :: v_dual_mov_b32 v1, v8
	v_dual_mov_b32 v2, v9 :: v_dual_mov_b32 v3, v10
; %bb.20:                               ;   in Loop: Header=BB14_8 Depth=1
	s_and_not1_saveexec_b32 s18, s18
; %bb.21:                               ;   in Loop: Header=BB14_8 Depth=1
	s_delay_alu instid0(VALU_DEP_1)
	v_dual_mov_b32 v0, v2 :: v_dual_mov_b32 v1, v3
	v_dual_mov_b32 v2, v4 :: v_dual_mov_b32 v3, v5
; %bb.22:                               ;   in Loop: Header=BB14_8 Depth=1
	s_or_b32 exec_lo, exec_lo, s18
	s_and_not1_saveexec_b32 s17, s17
	s_cbranch_execz .LBB14_10
.LBB14_23:                              ;   in Loop: Header=BB14_8 Depth=1
	s_mov_b32 s18, exec_lo
	v_cmpx_eq_u32_e32 1, v25
; %bb.24:                               ;   in Loop: Header=BB14_8 Depth=1
	v_dual_mov_b32 v0, v1 :: v_dual_mov_b32 v1, v2
	v_dual_mov_b32 v2, v3 :: v_dual_mov_b32 v3, v4
; %bb.25:                               ;   in Loop: Header=BB14_8 Depth=1
	s_or_b32 exec_lo, exec_lo, s18
	s_delay_alu instid0(SALU_CYCLE_1) | instskip(NEXT) | instid1(SALU_CYCLE_1)
	s_or_b32 exec_lo, exec_lo, s17
	s_mov_b32 s17, exec_lo
	v_cmpx_gt_i64_e64 s[4:5], v[13:14]
	s_cbranch_execnz .LBB14_11
	s_branch .LBB14_12
.LBB14_26:
	s_endpgm
.LBB14_27:
                                        ; implicit-def: $sgpr2_sgpr3
	s_branch .LBB14_4
	.section	.rodata,"a",@progbits
	.p2align	6, 0x0
	.amdhsa_kernel _ZN2at6native12_GLOBAL__N_143distribution_elementwise_grid_stride_kernelIfLi4EZNS0_9templates4cuda21uniform_and_transformIN3c108BFloat16EfPNS_17CUDAGeneratorImplEZZZNS4_14uniform_kernelIS9_EEvRNS_18TensorIteratorBaseEddT_ENKUlvE_clEvENKUlvE2_clEvEUlfE_EEvSC_T1_T2_EUlP25hiprandStatePhilox4_32_10E0_ZNS1_27distribution_nullary_kernelIS7_f15HIP_vector_typeIfLj4EES9_SL_SG_EEvSC_SI_RKT3_T4_EUlifE_EEvlNS_15PhiloxCudaStateESH_SI_
		.amdhsa_group_segment_fixed_size 0
		.amdhsa_private_segment_fixed_size 0
		.amdhsa_kernarg_size 328
		.amdhsa_user_sgpr_count 15
		.amdhsa_user_sgpr_dispatch_ptr 0
		.amdhsa_user_sgpr_queue_ptr 0
		.amdhsa_user_sgpr_kernarg_segment_ptr 1
		.amdhsa_user_sgpr_dispatch_id 0
		.amdhsa_user_sgpr_private_segment_size 0
		.amdhsa_wavefront_size32 1
		.amdhsa_uses_dynamic_stack 0
		.amdhsa_enable_private_segment 0
		.amdhsa_system_sgpr_workgroup_id_x 1
		.amdhsa_system_sgpr_workgroup_id_y 0
		.amdhsa_system_sgpr_workgroup_id_z 0
		.amdhsa_system_sgpr_workgroup_info 0
		.amdhsa_system_vgpr_workitem_id 0
		.amdhsa_next_free_vgpr 45
		.amdhsa_next_free_sgpr 23
		.amdhsa_reserve_vcc 1
		.amdhsa_float_round_mode_32 0
		.amdhsa_float_round_mode_16_64 0
		.amdhsa_float_denorm_mode_32 3
		.amdhsa_float_denorm_mode_16_64 3
		.amdhsa_dx10_clamp 1
		.amdhsa_ieee_mode 1
		.amdhsa_fp16_overflow 0
		.amdhsa_workgroup_processor_mode 1
		.amdhsa_memory_ordered 1
		.amdhsa_forward_progress 0
		.amdhsa_shared_vgpr_count 0
		.amdhsa_exception_fp_ieee_invalid_op 0
		.amdhsa_exception_fp_denorm_src 0
		.amdhsa_exception_fp_ieee_div_zero 0
		.amdhsa_exception_fp_ieee_overflow 0
		.amdhsa_exception_fp_ieee_underflow 0
		.amdhsa_exception_fp_ieee_inexact 0
		.amdhsa_exception_int_div_zero 0
	.end_amdhsa_kernel
	.section	.text._ZN2at6native12_GLOBAL__N_143distribution_elementwise_grid_stride_kernelIfLi4EZNS0_9templates4cuda21uniform_and_transformIN3c108BFloat16EfPNS_17CUDAGeneratorImplEZZZNS4_14uniform_kernelIS9_EEvRNS_18TensorIteratorBaseEddT_ENKUlvE_clEvENKUlvE2_clEvEUlfE_EEvSC_T1_T2_EUlP25hiprandStatePhilox4_32_10E0_ZNS1_27distribution_nullary_kernelIS7_f15HIP_vector_typeIfLj4EES9_SL_SG_EEvSC_SI_RKT3_T4_EUlifE_EEvlNS_15PhiloxCudaStateESH_SI_,"axG",@progbits,_ZN2at6native12_GLOBAL__N_143distribution_elementwise_grid_stride_kernelIfLi4EZNS0_9templates4cuda21uniform_and_transformIN3c108BFloat16EfPNS_17CUDAGeneratorImplEZZZNS4_14uniform_kernelIS9_EEvRNS_18TensorIteratorBaseEddT_ENKUlvE_clEvENKUlvE2_clEvEUlfE_EEvSC_T1_T2_EUlP25hiprandStatePhilox4_32_10E0_ZNS1_27distribution_nullary_kernelIS7_f15HIP_vector_typeIfLj4EES9_SL_SG_EEvSC_SI_RKT3_T4_EUlifE_EEvlNS_15PhiloxCudaStateESH_SI_,comdat
.Lfunc_end14:
	.size	_ZN2at6native12_GLOBAL__N_143distribution_elementwise_grid_stride_kernelIfLi4EZNS0_9templates4cuda21uniform_and_transformIN3c108BFloat16EfPNS_17CUDAGeneratorImplEZZZNS4_14uniform_kernelIS9_EEvRNS_18TensorIteratorBaseEddT_ENKUlvE_clEvENKUlvE2_clEvEUlfE_EEvSC_T1_T2_EUlP25hiprandStatePhilox4_32_10E0_ZNS1_27distribution_nullary_kernelIS7_f15HIP_vector_typeIfLj4EES9_SL_SG_EEvSC_SI_RKT3_T4_EUlifE_EEvlNS_15PhiloxCudaStateESH_SI_, .Lfunc_end14-_ZN2at6native12_GLOBAL__N_143distribution_elementwise_grid_stride_kernelIfLi4EZNS0_9templates4cuda21uniform_and_transformIN3c108BFloat16EfPNS_17CUDAGeneratorImplEZZZNS4_14uniform_kernelIS9_EEvRNS_18TensorIteratorBaseEddT_ENKUlvE_clEvENKUlvE2_clEvEUlfE_EEvSC_T1_T2_EUlP25hiprandStatePhilox4_32_10E0_ZNS1_27distribution_nullary_kernelIS7_f15HIP_vector_typeIfLj4EES9_SL_SG_EEvSC_SI_RKT3_T4_EUlifE_EEvlNS_15PhiloxCudaStateESH_SI_
                                        ; -- End function
	.section	.AMDGPU.csdata,"",@progbits
; Kernel info:
; codeLenInByte = 3160
; NumSgprs: 25
; NumVgprs: 45
; ScratchSize: 0
; MemoryBound: 0
; FloatMode: 240
; IeeeMode: 1
; LDSByteSize: 0 bytes/workgroup (compile time only)
; SGPRBlocks: 3
; VGPRBlocks: 5
; NumSGPRsForWavesPerEU: 25
; NumVGPRsForWavesPerEU: 45
; Occupancy: 16
; WaveLimiterHint : 0
; COMPUTE_PGM_RSRC2:SCRATCH_EN: 0
; COMPUTE_PGM_RSRC2:USER_SGPR: 15
; COMPUTE_PGM_RSRC2:TRAP_HANDLER: 0
; COMPUTE_PGM_RSRC2:TGID_X_EN: 1
; COMPUTE_PGM_RSRC2:TGID_Y_EN: 0
; COMPUTE_PGM_RSRC2:TGID_Z_EN: 0
; COMPUTE_PGM_RSRC2:TIDIG_COMP_CNT: 0
	.section	.text._ZN2at6native12_GLOBAL__N_143distribution_elementwise_grid_stride_kernelIfLi4EZNS0_9templates4cuda21uniform_and_transformIN3c108BFloat16EfPNS_17CUDAGeneratorImplEZZZNS4_14uniform_kernelIS9_EEvRNS_18TensorIteratorBaseEddT_ENKUlvE_clEvENKUlvE2_clEvEUlfE_EEvSC_T1_T2_EUlP25hiprandStatePhilox4_32_10E0_ZNS1_27distribution_nullary_kernelIS7_f15HIP_vector_typeIfLj4EES9_SL_SG_EEvSC_SI_RKT3_T4_EUlifE0_EEvlNS_15PhiloxCudaStateESH_SI_,"axG",@progbits,_ZN2at6native12_GLOBAL__N_143distribution_elementwise_grid_stride_kernelIfLi4EZNS0_9templates4cuda21uniform_and_transformIN3c108BFloat16EfPNS_17CUDAGeneratorImplEZZZNS4_14uniform_kernelIS9_EEvRNS_18TensorIteratorBaseEddT_ENKUlvE_clEvENKUlvE2_clEvEUlfE_EEvSC_T1_T2_EUlP25hiprandStatePhilox4_32_10E0_ZNS1_27distribution_nullary_kernelIS7_f15HIP_vector_typeIfLj4EES9_SL_SG_EEvSC_SI_RKT3_T4_EUlifE0_EEvlNS_15PhiloxCudaStateESH_SI_,comdat
	.globl	_ZN2at6native12_GLOBAL__N_143distribution_elementwise_grid_stride_kernelIfLi4EZNS0_9templates4cuda21uniform_and_transformIN3c108BFloat16EfPNS_17CUDAGeneratorImplEZZZNS4_14uniform_kernelIS9_EEvRNS_18TensorIteratorBaseEddT_ENKUlvE_clEvENKUlvE2_clEvEUlfE_EEvSC_T1_T2_EUlP25hiprandStatePhilox4_32_10E0_ZNS1_27distribution_nullary_kernelIS7_f15HIP_vector_typeIfLj4EES9_SL_SG_EEvSC_SI_RKT3_T4_EUlifE0_EEvlNS_15PhiloxCudaStateESH_SI_ ; -- Begin function _ZN2at6native12_GLOBAL__N_143distribution_elementwise_grid_stride_kernelIfLi4EZNS0_9templates4cuda21uniform_and_transformIN3c108BFloat16EfPNS_17CUDAGeneratorImplEZZZNS4_14uniform_kernelIS9_EEvRNS_18TensorIteratorBaseEddT_ENKUlvE_clEvENKUlvE2_clEvEUlfE_EEvSC_T1_T2_EUlP25hiprandStatePhilox4_32_10E0_ZNS1_27distribution_nullary_kernelIS7_f15HIP_vector_typeIfLj4EES9_SL_SG_EEvSC_SI_RKT3_T4_EUlifE0_EEvlNS_15PhiloxCudaStateESH_SI_
	.p2align	8
	.type	_ZN2at6native12_GLOBAL__N_143distribution_elementwise_grid_stride_kernelIfLi4EZNS0_9templates4cuda21uniform_and_transformIN3c108BFloat16EfPNS_17CUDAGeneratorImplEZZZNS4_14uniform_kernelIS9_EEvRNS_18TensorIteratorBaseEddT_ENKUlvE_clEvENKUlvE2_clEvEUlfE_EEvSC_T1_T2_EUlP25hiprandStatePhilox4_32_10E0_ZNS1_27distribution_nullary_kernelIS7_f15HIP_vector_typeIfLj4EES9_SL_SG_EEvSC_SI_RKT3_T4_EUlifE0_EEvlNS_15PhiloxCudaStateESH_SI_,@function
_ZN2at6native12_GLOBAL__N_143distribution_elementwise_grid_stride_kernelIfLi4EZNS0_9templates4cuda21uniform_and_transformIN3c108BFloat16EfPNS_17CUDAGeneratorImplEZZZNS4_14uniform_kernelIS9_EEvRNS_18TensorIteratorBaseEddT_ENKUlvE_clEvENKUlvE2_clEvEUlfE_EEvSC_T1_T2_EUlP25hiprandStatePhilox4_32_10E0_ZNS1_27distribution_nullary_kernelIS7_f15HIP_vector_typeIfLj4EES9_SL_SG_EEvSC_SI_RKT3_T4_EUlifE0_EEvlNS_15PhiloxCudaStateESH_SI_: ; @_ZN2at6native12_GLOBAL__N_143distribution_elementwise_grid_stride_kernelIfLi4EZNS0_9templates4cuda21uniform_and_transformIN3c108BFloat16EfPNS_17CUDAGeneratorImplEZZZNS4_14uniform_kernelIS9_EEvRNS_18TensorIteratorBaseEddT_ENKUlvE_clEvENKUlvE2_clEvEUlfE_EEvSC_T1_T2_EUlP25hiprandStatePhilox4_32_10E0_ZNS1_27distribution_nullary_kernelIS7_f15HIP_vector_typeIfLj4EES9_SL_SG_EEvSC_SI_RKT3_T4_EUlifE0_EEvlNS_15PhiloxCudaStateESH_SI_
; %bb.0:
	s_clause 0x2
	s_load_b64 s[4:5], s[0:1], 0x10
	s_load_b128 s[16:19], s[0:1], 0x0
	s_load_b32 s2, s[0:1], 0x20
	s_waitcnt lgkmcnt(0)
	v_dual_mov_b32 v2, s4 :: v_dual_mov_b32 v3, s5
	v_dual_mov_b32 v11, s18 :: v_dual_mov_b32 v12, s19
	s_bitcmp0_b32 s2, 0
	s_mov_b32 s2, 0
	s_cbranch_scc1 .LBB15_2
; %bb.1:
	v_dual_mov_b32 v1, s4 :: v_dual_mov_b32 v2, s5
	v_dual_mov_b32 v4, s18 :: v_dual_mov_b32 v5, s19
	s_load_b64 s[4:5], s[0:1], 0x18
	flat_load_b64 v[2:3], v[1:2]
	flat_load_b64 v[11:12], v[4:5]
	s_waitcnt vmcnt(1) lgkmcnt(0)
	v_add_co_u32 v2, vcc_lo, v2, s4
	v_add_co_ci_u32_e32 v3, vcc_lo, s5, v3, vcc_lo
.LBB15_2:
	s_clause 0x1
	s_load_b32 s3, s[0:1], 0x154
	s_load_b32 s4, s[0:1], 0x148
	s_waitcnt lgkmcnt(0)
	s_and_b32 s5, s3, 0xffff
	s_add_u32 s6, s16, -1
	s_mul_i32 s26, s4, s5
	s_addc_u32 s3, s17, -1
	s_lshl_b32 s27, s26, 2
	s_cmp_lg_u64 s[2:3], 0
	s_cbranch_scc0 .LBB15_79
; %bb.3:
	v_cvt_f32_ubyte0_e32 v1, 0
	v_cvt_f32_u32_e32 v4, s27
	s_sub_u32 s8, 0, s27
	s_subb_u32 s9, 0, 0
	s_delay_alu instid0(VALU_DEP_1) | instskip(NEXT) | instid1(VALU_DEP_1)
	v_fmamk_f32 v1, v1, 0x4f800000, v4
	v_rcp_f32_e32 v1, v1
	s_waitcnt_depctr 0xfff
	v_mul_f32_e32 v1, 0x5f7ffffc, v1
	s_delay_alu instid0(VALU_DEP_1) | instskip(NEXT) | instid1(VALU_DEP_1)
	v_mul_f32_e32 v4, 0x2f800000, v1
	v_trunc_f32_e32 v4, v4
	s_delay_alu instid0(VALU_DEP_1) | instskip(SKIP_1) | instid1(VALU_DEP_2)
	v_fmamk_f32 v1, v4, 0xcf800000, v1
	v_cvt_u32_f32_e32 v4, v4
	v_cvt_u32_f32_e32 v1, v1
	s_delay_alu instid0(VALU_DEP_2) | instskip(NEXT) | instid1(VALU_DEP_2)
	v_readfirstlane_b32 s2, v4
	v_readfirstlane_b32 s7, v1
	s_delay_alu instid0(VALU_DEP_2) | instskip(NEXT) | instid1(VALU_DEP_1)
	s_mul_i32 s10, s8, s2
	s_mul_hi_u32 s12, s8, s7
	s_mul_i32 s11, s9, s7
	s_add_i32 s10, s12, s10
	s_mul_i32 s13, s8, s7
	s_add_i32 s10, s10, s11
	s_mul_hi_u32 s12, s7, s13
	s_mul_hi_u32 s14, s2, s13
	s_mul_i32 s11, s2, s13
	s_mul_hi_u32 s13, s7, s10
	s_mul_i32 s7, s7, s10
	s_mul_hi_u32 s18, s2, s10
	s_add_u32 s7, s12, s7
	s_addc_u32 s12, 0, s13
	s_add_u32 s7, s7, s11
	s_mul_i32 s10, s2, s10
	s_addc_u32 s7, s12, s14
	s_addc_u32 s11, s18, 0
	s_add_u32 s7, s7, s10
	s_addc_u32 s10, 0, s11
	v_add_co_u32 v1, s7, v1, s7
	s_delay_alu instid0(VALU_DEP_1) | instskip(SKIP_1) | instid1(VALU_DEP_1)
	s_cmp_lg_u32 s7, 0
	s_addc_u32 s2, s2, s10
	v_readfirstlane_b32 s7, v1
	s_mul_i32 s10, s8, s2
	s_delay_alu instid0(VALU_DEP_1)
	s_mul_hi_u32 s11, s8, s7
	s_mul_i32 s9, s9, s7
	s_add_i32 s10, s11, s10
	s_mul_i32 s8, s8, s7
	s_add_i32 s10, s10, s9
	s_mul_hi_u32 s11, s2, s8
	s_mul_i32 s12, s2, s8
	s_mul_hi_u32 s8, s7, s8
	s_mul_hi_u32 s13, s7, s10
	s_mul_i32 s7, s7, s10
	s_mul_hi_u32 s9, s2, s10
	s_add_u32 s7, s8, s7
	s_addc_u32 s8, 0, s13
	s_add_u32 s7, s7, s12
	s_mul_i32 s10, s2, s10
	s_addc_u32 s7, s8, s11
	s_addc_u32 s8, s9, 0
	s_add_u32 s7, s7, s10
	s_addc_u32 s8, 0, s8
	v_add_co_u32 v1, s7, v1, s7
	s_delay_alu instid0(VALU_DEP_1) | instskip(SKIP_2) | instid1(VALU_DEP_1)
	s_cmp_lg_u32 s7, 0
	s_addc_u32 s7, s2, s8
	s_ashr_i32 s8, s3, 31
	v_readfirstlane_b32 s10, v1
	s_add_u32 s2, s6, s8
	s_mov_b32 s9, s8
	s_addc_u32 s3, s3, s8
	s_delay_alu instid0(SALU_CYCLE_1) | instskip(NEXT) | instid1(SALU_CYCLE_1)
	s_xor_b64 s[2:3], s[2:3], s[8:9]
	s_mul_i32 s12, s2, s7
	s_mul_hi_u32 s13, s2, s10
	s_mul_hi_u32 s11, s2, s7
	;; [unrolled: 1-line block ×3, first 2 shown]
	s_mul_i32 s10, s3, s10
	s_add_u32 s12, s13, s12
	s_addc_u32 s11, 0, s11
	s_mul_hi_u32 s14, s3, s7
	s_add_u32 s10, s12, s10
	s_mul_i32 s7, s3, s7
	s_addc_u32 s10, s11, s18
	s_addc_u32 s11, s14, 0
	s_add_u32 s7, s10, s7
	s_addc_u32 s10, 0, s11
	s_mul_i32 s12, s27, s7
	s_add_u32 s11, s7, 1
	v_sub_co_u32 v1, s2, s2, s12
	s_mul_hi_u32 s12, s27, s7
	s_addc_u32 s13, s10, 0
	s_mul_i32 s14, s27, s10
	s_delay_alu instid0(VALU_DEP_1)
	v_sub_co_u32 v4, s18, v1, s27
	s_add_u32 s19, s7, 2
	s_addc_u32 s20, s10, 0
	s_add_i32 s12, s12, s14
	s_cmp_lg_u32 s2, 0
	v_readfirstlane_b32 s2, v4
	s_subb_u32 s3, s3, s12
	s_cmp_lg_u32 s18, 0
	s_subb_u32 s12, s3, 0
	s_delay_alu instid0(VALU_DEP_1) | instskip(SKIP_4) | instid1(SALU_CYCLE_1)
	s_cmp_ge_u32 s2, s27
	s_cselect_b32 s2, -1, 0
	s_cmp_eq_u32 s12, 0
	v_readfirstlane_b32 s12, v1
	s_cselect_b32 s2, s2, -1
	s_cmp_lg_u32 s2, 0
	s_cselect_b32 s2, s19, s11
	s_cselect_b32 s11, s20, s13
	s_cmp_ge_u32 s12, s27
	s_cselect_b32 s12, -1, 0
	s_cmp_eq_u32 s3, 0
	s_cselect_b32 s3, s12, -1
	s_delay_alu instid0(SALU_CYCLE_1) | instskip(SKIP_2) | instid1(SALU_CYCLE_1)
	s_cmp_lg_u32 s3, 0
	s_cselect_b32 s3, s11, s10
	s_cselect_b32 s2, s2, s7
	s_xor_b64 s[2:3], s[2:3], s[8:9]
	s_delay_alu instid0(SALU_CYCLE_1)
	s_sub_u32 s2, s2, s8
	s_subb_u32 s3, s3, s8
	s_cbranch_execnz .LBB15_5
.LBB15_4:
	v_cvt_f32_u32_e32 v1, s27
	s_sub_i32 s3, 0, s27
	s_delay_alu instid0(VALU_DEP_1) | instskip(SKIP_2) | instid1(VALU_DEP_1)
	v_rcp_iflag_f32_e32 v1, v1
	s_waitcnt_depctr 0xfff
	v_mul_f32_e32 v1, 0x4f7ffffe, v1
	v_cvt_u32_f32_e32 v1, v1
	s_delay_alu instid0(VALU_DEP_1) | instskip(NEXT) | instid1(VALU_DEP_1)
	v_readfirstlane_b32 s2, v1
	s_mul_i32 s3, s3, s2
	s_delay_alu instid0(SALU_CYCLE_1) | instskip(NEXT) | instid1(SALU_CYCLE_1)
	s_mul_hi_u32 s3, s2, s3
	s_add_i32 s2, s2, s3
	s_delay_alu instid0(SALU_CYCLE_1) | instskip(NEXT) | instid1(SALU_CYCLE_1)
	s_mul_hi_u32 s2, s6, s2
	s_mul_i32 s3, s2, s27
	s_delay_alu instid0(SALU_CYCLE_1)
	s_sub_i32 s3, s6, s3
	s_add_i32 s6, s2, 1
	s_sub_i32 s7, s3, s27
	s_cmp_ge_u32 s3, s27
	s_cselect_b32 s2, s6, s2
	s_cselect_b32 s3, s7, s3
	s_add_i32 s6, s2, 1
	s_cmp_ge_u32 s3, s27
	s_mov_b32 s3, 0
	s_cselect_b32 s2, s6, s2
.LBB15_5:
	v_mov_b32_e32 v1, 0
	s_add_u32 s2, s2, 1
	s_addc_u32 s3, s3, 0
	s_mul_hi_u32 s6, s26, s2
	s_mul_i32 s3, s26, s3
	v_mad_u64_u32 v[13:14], null, s5, s15, v[0:1]
	s_mul_hi_u32 s4, s4, s5
	s_add_i32 s3, s6, s3
	s_mul_i32 s4, s4, s2
	s_mul_i32 s2, s26, s2
	s_add_i32 s3, s3, s4
	s_mov_b32 s4, exec_lo
	s_lshl_b64 s[2:3], s[2:3], 2
	s_delay_alu instid0(SALU_CYCLE_1)
	v_cmpx_gt_i64_e64 s[2:3], v[13:14]
	s_cbranch_execz .LBB15_78
; %bb.6:
	v_alignbit_b32 v17, v3, v2, 2
	v_mad_u64_u32 v[4:5], null, 0xcd9e8d57, v13, 0
	v_lshrrev_b32_e32 v18, 2, v3
	s_waitcnt vmcnt(0)
	v_dual_mov_b32 v9, v12 :: v_dual_add_nc_u32 v26, 0x8ff34781, v11
	v_mad_u64_u32 v[0:1], null, 0xd2511f53, v17, 0
	v_add_co_u32 v20, null, 0x9e3779b9, v11
	v_xor3_b32 v3, v11, v5, v18
	s_delay_alu instid0(VALU_DEP_4) | instskip(SKIP_2) | instid1(VALU_DEP_4)
	v_add_co_u32 v19, null, 0xbb67ae85, v9
	v_add_co_u32 v21, null, 0x3c6ef372, v11
	v_xor_b32_e32 v1, v1, v12
	v_mad_u64_u32 v[5:6], null, 0xd2511f53, v3, 0
	v_add_co_u32 v22, null, 0x76cf5d0a, v9
	s_delay_alu instid0(VALU_DEP_3) | instskip(SKIP_2) | instid1(VALU_DEP_3)
	v_xor_b32_e32 v1, v1, v14
	v_add_co_u32 v23, null, 0x32370b8f, v9
	v_add_co_u32 v24, null, 0xdaa66d2b, v11
	v_mad_u64_u32 v[7:8], null, 0xcd9e8d57, v1, 0
	v_xor3_b32 v3, v19, v6, v0
	v_and_b32_e32 v25, 3, v2
	v_add_co_u32 v28, null, 0x78dde6e4, v11
	v_add_co_u32 v29, null, 0xed9eba14, v9
	v_xor3_b32 v6, v20, v8, v4
	v_mad_u64_u32 v[0:1], null, 0xcd9e8d57, v3, 0
	v_add_co_u32 v31, null, 0xa9066899, v9
	s_delay_alu instid0(VALU_DEP_3) | instskip(SKIP_1) | instid1(VALU_DEP_4)
	v_mad_u64_u32 v[3:4], null, 0xd2511f53, v6, 0
	v_add_co_u32 v32, null, 0x1715609d, v11
	v_xor3_b32 v1, v21, v1, v7
	v_add_co_u32 v33, null, 0xb54cda56, v11
	v_add_co_u32 v36, null, 0x646e171e, v9
	v_xor3_b32 v8, v22, v4, v5
	s_delay_alu instid0(VALU_DEP_4) | instskip(SKIP_2) | instid1(VALU_DEP_3)
	v_mad_u64_u32 v[4:5], null, 0xd2511f53, v1, 0
	s_load_b256 s[4:11], s[0:1], 0x30
	v_add_co_u32 v30, null, 0x5384540f, v11
	v_mad_u64_u32 v[6:7], null, 0xcd9e8d57, v8, 0
	v_add_co_u32 v37, null, 0x1fd5c5a3, v9
	s_delay_alu instid0(VALU_DEP_4) | instskip(SKIP_4) | instid1(VALU_DEP_4)
	v_xor3_b32 v2, v23, v5, v3
	s_clause 0x1
	s_load_b64 s[20:21], s[0:1], 0xf4
	s_load_b128 s[12:15], s[0:1], 0x138
	v_add_co_u32 v34, null, 0xf1bbcdc8, v11
	v_xor3_b32 v5, v24, v7, v0
	v_mad_u64_u32 v[0:1], null, 0xcd9e8d57, v2, 0
	v_add_co_u32 v38, null, 0xdb3d7428, v9
	s_delay_alu instid0(VALU_DEP_3) | instskip(SKIP_2) | instid1(VALU_DEP_3)
	v_mad_u64_u32 v[2:3], null, 0xd2511f53, v5, 0
	s_add_u32 s18, s0, 48
	s_addc_u32 s19, s1, 0
	v_xor3_b32 v1, v28, v1, v6
	s_waitcnt lgkmcnt(0)
	s_add_i32 s22, s4, -1
	v_add_nc_u32_e32 v27, 0x96a522ad, v12
	s_cmp_gt_u32 s22, 1
	v_xor3_b32 v7, v29, v3, v4
	v_mad_u64_u32 v[3:4], null, 0xd2511f53, v1, 0
	s_cselect_b32 s11, -1, 0
	s_cmp_lg_u32 s4, 0
	s_delay_alu instid0(VALU_DEP_2) | instskip(SKIP_2) | instid1(VALU_DEP_2)
	v_mad_u64_u32 v[5:6], null, 0xcd9e8d57, v7, 0
	s_cselect_b32 s29, -1, 0
	s_add_u32 s0, s0, 0xf4
	v_xor3_b32 v2, v31, v4, v2
	s_addc_u32 s1, s1, 0
	s_min_u32 s23, s22, 15
	s_cmp_gt_u32 s4, 1
	s_delay_alu instid0(VALU_DEP_2) | instskip(SKIP_3) | instid1(VALU_DEP_2)
	v_xor3_b32 v4, v32, v6, v0
	v_mad_u64_u32 v[0:1], null, 0xcd9e8d57, v2, 0
	s_mov_b32 s4, s9
	s_cselect_b32 s9, -1, 0
	v_mad_u64_u32 v[6:7], null, 0xd2511f53, v4, 0
	s_add_i32 s23, s23, 1
	s_lshl_b32 s30, s15, 16
	s_delay_alu instid0(VALU_DEP_2) | instskip(SKIP_3) | instid1(VALU_DEP_2)
	v_xor3_b32 v4, v33, v1, v5
	s_lshl_b32 s31, s26, 1
	s_and_b32 s33, s23, 3
	s_cmp_lg_u32 s22, 2
	v_xor3_b32 v5, v36, v7, v3
	v_mad_u64_u32 v[1:2], null, 0xd2511f53, v4, 0
	v_mov_b32_e32 v35, v13
	s_cselect_b32 s35, -1, 0
	s_delay_alu instid0(VALU_DEP_3) | instskip(SKIP_2) | instid1(VALU_DEP_4)
	v_mad_u64_u32 v[3:4], null, 0xcd9e8d57, v5, 0
	s_and_b32 s36, s23, 28
	v_mov_b32_e32 v39, v14
	v_xor3_b32 v2, v37, v2, v6
	s_cmp_lg_u32 s33, 0
	s_mov_b32 s28, 0
	s_pack_lh_b32_b16 s34, 0, s15
	s_delay_alu instid0(VALU_DEP_3) | instskip(SKIP_3) | instid1(VALU_DEP_2)
	v_xor3_b32 v0, v30, v4, v0
	v_mad_u64_u32 v[4:5], null, 0xcd9e8d57, v2, 0
	s_mul_i32 s37, s26, 3
	s_cselect_b32 s38, -1, 0
	v_mad_u64_u32 v[6:7], null, 0xd2511f53, v0, 0
	s_delay_alu instid0(VALU_DEP_2) | instskip(NEXT) | instid1(VALU_DEP_2)
	v_xor3_b32 v0, v34, v5, v3
	v_xor3_b32 v3, v38, v7, v1
	s_delay_alu instid0(VALU_DEP_2) | instskip(NEXT) | instid1(VALU_DEP_2)
	v_mad_u64_u32 v[7:8], null, 0xd2511f53, v0, 0
	v_mad_u64_u32 v[1:2], null, 0xcd9e8d57, v3, 0
	s_delay_alu instid0(VALU_DEP_2) | instskip(NEXT) | instid1(VALU_DEP_2)
	v_mov_b32_e32 v3, v7
	v_xor3_b32 v0, v2, v4, v26
	s_delay_alu instid0(VALU_DEP_4)
	v_xor3_b32 v2, v8, v6, v27
	s_branch .LBB15_9
.LBB15_7:                               ;   in Loop: Header=BB15_9 Depth=1
	v_cvt_f32_u32_e32 v0, v3
	s_delay_alu instid0(VALU_DEP_1) | instskip(NEXT) | instid1(VALU_DEP_1)
	v_fmaak_f32 v0, 0x2f800000, v0, 0x2f800000
	v_fma_f32 v0, v0, s14, s30
	s_delay_alu instid0(VALU_DEP_1) | instskip(SKIP_1) | instid1(VALU_DEP_2)
	v_bfe_u32 v2, v0, 16, 1
	v_cmp_o_f32_e32 vcc_lo, v0, v0
	v_add3_u32 v2, v0, v2, 0x7fff
	s_delay_alu instid0(VALU_DEP_1) | instskip(NEXT) | instid1(VALU_DEP_1)
	v_lshrrev_b32_e32 v2, 16, v2
	v_cndmask_b32_e32 v0, 0x7fc0, v2, vcc_lo
	s_delay_alu instid0(VALU_DEP_1) | instskip(NEXT) | instid1(VALU_DEP_1)
	v_lshlrev_b32_e32 v2, 16, v0
	v_cmp_eq_f32_e32 vcc_lo, s34, v2
	v_cndmask_b32_e64 v0, v0, s15, vcc_lo
	global_store_b16 v1, v0, s[12:13]
.LBB15_8:                               ;   in Loop: Header=BB15_9 Depth=1
	s_or_b32 exec_lo, exec_lo, s39
	v_add_co_u32 v13, vcc_lo, v13, s27
	v_add_co_ci_u32_e32 v14, vcc_lo, 0, v14, vcc_lo
	v_mov_b32_e32 v7, v15
	v_dual_mov_b32 v0, v4 :: v_dual_mov_b32 v1, v5
	s_delay_alu instid0(VALU_DEP_3) | instskip(NEXT) | instid1(VALU_DEP_3)
	v_cmp_le_i64_e32 vcc_lo, s[2:3], v[13:14]
	v_dual_mov_b32 v2, v6 :: v_dual_mov_b32 v3, v7
	s_waitcnt_vscnt null, 0x0
	s_barrier
	buffer_gl0_inv
	s_or_b32 s28, vcc_lo, s28
	s_delay_alu instid0(SALU_CYCLE_1)
	s_and_not1_b32 exec_lo, exec_lo, s28
	s_cbranch_execz .LBB15_78
.LBB15_9:                               ; =>This Loop Header: Depth=1
                                        ;     Child Loop BB15_24 Depth 2
                                        ;     Child Loop BB15_29 Depth 2
	;; [unrolled: 1-line block ×8, first 2 shown]
	v_add_co_u32 v17, vcc_lo, v17, 1
	s_delay_alu instid0(VALU_DEP_1) | instskip(SKIP_2) | instid1(VALU_DEP_1)
	v_cndmask_b32_e64 v4, 0, 1, vcc_lo
	v_add_co_ci_u32_e32 v18, vcc_lo, 0, v18, vcc_lo
	s_mov_b32 s22, exec_lo
	v_cmp_eq_u32_e32 vcc_lo, 0, v18
	s_delay_alu instid0(VALU_DEP_3) | instskip(NEXT) | instid1(VALU_DEP_1)
	v_cndmask_b32_e32 v4, 0, v4, vcc_lo
	v_add_nc_u32_e32 v35, v4, v35
	s_delay_alu instid0(VALU_DEP_1) | instskip(SKIP_2) | instid1(VALU_DEP_2)
	v_cmp_eq_u32_e32 vcc_lo, 0, v35
	v_cndmask_b32_e32 v4, 0, v4, vcc_lo
	v_mad_u64_u32 v[6:7], null, 0xcd9e8d57, v35, 0
	v_add_nc_u32_e32 v39, v4, v39
	v_mad_u64_u32 v[4:5], null, 0xd2511f53, v17, 0
	s_delay_alu instid0(VALU_DEP_3) | instskip(NEXT) | instid1(VALU_DEP_2)
	v_xor3_b32 v9, v7, v11, v18
	v_xor_b32_e32 v5, v5, v12
	s_delay_alu instid0(VALU_DEP_2) | instskip(NEXT) | instid1(VALU_DEP_2)
	v_mad_u64_u32 v[7:8], null, 0xd2511f53, v9, 0
	v_xor_b32_e32 v5, v39, v5
	s_delay_alu instid0(VALU_DEP_2) | instskip(NEXT) | instid1(VALU_DEP_2)
	v_xor3_b32 v8, v19, v8, v4
	v_mad_u64_u32 v[9:10], null, 0xcd9e8d57, v5, 0
	s_delay_alu instid0(VALU_DEP_2) | instskip(NEXT) | instid1(VALU_DEP_2)
	v_mad_u64_u32 v[4:5], null, 0xcd9e8d57, v8, 0
	v_xor3_b32 v6, v20, v10, v6
	s_delay_alu instid0(VALU_DEP_2) | instskip(NEXT) | instid1(VALU_DEP_2)
	v_xor3_b32 v8, v21, v5, v9
	v_mad_u64_u32 v[15:16], null, 0xd2511f53, v6, 0
	s_delay_alu instid0(VALU_DEP_2) | instskip(NEXT) | instid1(VALU_DEP_2)
	v_mad_u64_u32 v[5:6], null, 0xd2511f53, v8, 0
	v_xor3_b32 v9, v22, v16, v7
	s_delay_alu instid0(VALU_DEP_2) | instskip(NEXT) | instid1(VALU_DEP_2)
	v_xor3_b32 v6, v23, v6, v15
	v_mad_u64_u32 v[7:8], null, 0xcd9e8d57, v9, 0
	s_delay_alu instid0(VALU_DEP_1) | instskip(NEXT) | instid1(VALU_DEP_3)
	v_xor3_b32 v4, v24, v8, v4
	v_mad_u64_u32 v[8:9], null, 0xcd9e8d57, v6, 0
	s_delay_alu instid0(VALU_DEP_2) | instskip(NEXT) | instid1(VALU_DEP_2)
	v_mad_u64_u32 v[15:16], null, 0xd2511f53, v4, 0
	v_xor3_b32 v6, v28, v9, v7
	s_delay_alu instid0(VALU_DEP_2) | instskip(NEXT) | instid1(VALU_DEP_2)
	v_xor3_b32 v9, v29, v16, v5
	v_mad_u64_u32 v[4:5], null, 0xd2511f53, v6, 0
	s_delay_alu instid0(VALU_DEP_2) | instskip(NEXT) | instid1(VALU_DEP_2)
	v_mad_u64_u32 v[6:7], null, 0xcd9e8d57, v9, 0
	v_xor3_b32 v5, v31, v5, v15
	s_delay_alu instid0(VALU_DEP_2) | instskip(NEXT) | instid1(VALU_DEP_2)
	;; [unrolled: 6-line block ×6, first 2 shown]
	v_xor3_b32 v4, v6, v7, v26
	v_mov_b32_e32 v6, v10
	v_cmpx_lt_i32_e32 1, v25
	s_xor_b32 s22, exec_lo, s22
	s_cbranch_execnz .LBB15_12
; %bb.10:                               ;   in Loop: Header=BB15_9 Depth=1
	s_and_not1_saveexec_b32 s22, s22
	s_cbranch_execnz .LBB15_17
.LBB15_11:                              ;   in Loop: Header=BB15_9 Depth=1
	s_or_b32 exec_lo, exec_lo, s22
	s_delay_alu instid0(SALU_CYCLE_1)
	s_mov_b32 s39, exec_lo
	v_cmpx_gt_i64_e64 s[16:17], v[13:14]
	s_cbranch_execnz .LBB15_20
	s_branch .LBB15_34
.LBB15_12:                              ;   in Loop: Header=BB15_9 Depth=1
	s_mov_b32 s23, exec_lo
	v_cmpx_lt_i32_e32 2, v25
	s_xor_b32 s23, exec_lo, s23
; %bb.13:                               ;   in Loop: Header=BB15_9 Depth=1
	v_dual_mov_b32 v7, v3 :: v_dual_mov_b32 v8, v4
	v_mov_b32_e32 v9, v5
	s_delay_alu instid0(VALU_DEP_2) | instskip(NEXT) | instid1(VALU_DEP_2)
	v_dual_mov_b32 v0, v7 :: v_dual_mov_b32 v1, v8
	v_dual_mov_b32 v2, v9 :: v_dual_mov_b32 v3, v10
; %bb.14:                               ;   in Loop: Header=BB15_9 Depth=1
	s_and_not1_saveexec_b32 s23, s23
; %bb.15:                               ;   in Loop: Header=BB15_9 Depth=1
	s_delay_alu instid0(VALU_DEP_1)
	v_dual_mov_b32 v0, v2 :: v_dual_mov_b32 v1, v3
	v_dual_mov_b32 v2, v4 :: v_dual_mov_b32 v3, v5
; %bb.16:                               ;   in Loop: Header=BB15_9 Depth=1
	s_or_b32 exec_lo, exec_lo, s23
	s_and_not1_saveexec_b32 s22, s22
	s_cbranch_execz .LBB15_11
.LBB15_17:                              ;   in Loop: Header=BB15_9 Depth=1
	s_mov_b32 s23, exec_lo
	v_cmpx_eq_u32_e32 1, v25
; %bb.18:                               ;   in Loop: Header=BB15_9 Depth=1
	v_dual_mov_b32 v0, v1 :: v_dual_mov_b32 v1, v2
	v_dual_mov_b32 v2, v3 :: v_dual_mov_b32 v3, v4
; %bb.19:                               ;   in Loop: Header=BB15_9 Depth=1
	s_or_b32 exec_lo, exec_lo, s23
	s_delay_alu instid0(SALU_CYCLE_1) | instskip(NEXT) | instid1(SALU_CYCLE_1)
	s_or_b32 exec_lo, exec_lo, s22
	s_mov_b32 s39, exec_lo
	v_cmpx_gt_i64_e64 s[16:17], v[13:14]
	s_cbranch_execz .LBB15_34
.LBB15_20:                              ;   in Loop: Header=BB15_9 Depth=1
	s_and_not1_b32 vcc_lo, exec_lo, s11
	s_cbranch_vccnz .LBB15_26
; %bb.21:                               ;   in Loop: Header=BB15_9 Depth=1
	v_mov_b32_e32 v7, 0
	s_and_not1_b32 vcc_lo, exec_lo, s29
	s_cbranch_vccnz .LBB15_30
; %bb.22:                               ;   in Loop: Header=BB15_9 Depth=1
	s_and_not1_b32 vcc_lo, exec_lo, s35
	s_mov_b32 s22, 0
	s_cbranch_vccnz .LBB15_27
; %bb.23:                               ;   in Loop: Header=BB15_9 Depth=1
	v_dual_mov_b32 v7, 0 :: v_dual_mov_b32 v8, v13
	s_mov_b32 s40, 0
	s_mov_b64 s[22:23], s[18:19]
	s_mov_b64 s[24:25], s[0:1]
.LBB15_24:                              ;   Parent Loop BB15_9 Depth=1
                                        ; =>  This Inner Loop Header: Depth=2
	s_clause 0x1
	s_load_b256 s[44:51], s[22:23], 0x4
	s_load_b128 s[52:55], s[22:23], 0x24
	s_load_b128 s[56:59], s[24:25], 0x0
	s_add_u32 s22, s22, 48
	s_addc_u32 s23, s23, 0
	s_add_i32 s40, s40, 4
	s_add_u32 s24, s24, 16
	s_addc_u32 s25, s25, 0
	s_cmp_lg_u32 s36, s40
	s_waitcnt lgkmcnt(0)
	v_mul_hi_u32 v9, s45, v8
	s_delay_alu instid0(VALU_DEP_1) | instskip(NEXT) | instid1(VALU_DEP_1)
	v_add_nc_u32_e32 v9, v8, v9
	v_lshrrev_b32_e32 v9, s46, v9
	s_delay_alu instid0(VALU_DEP_1) | instskip(SKIP_1) | instid1(VALU_DEP_2)
	v_mul_hi_u32 v10, s48, v9
	v_mul_lo_u32 v41, v9, s44
	v_add_nc_u32_e32 v10, v9, v10
	s_delay_alu instid0(VALU_DEP_2) | instskip(NEXT) | instid1(VALU_DEP_2)
	v_sub_nc_u32_e32 v41, v8, v41
	v_lshrrev_b32_e32 v10, s49, v10
	s_delay_alu instid0(VALU_DEP_2) | instskip(NEXT) | instid1(VALU_DEP_2)
	v_mul_lo_u32 v41, v41, s56
	v_mul_hi_u32 v16, s51, v10
	v_mul_lo_u32 v42, v10, s47
	s_delay_alu instid0(VALU_DEP_2) | instskip(NEXT) | instid1(VALU_DEP_2)
	v_add_nc_u32_e32 v16, v10, v16
	v_sub_nc_u32_e32 v9, v9, v42
	s_delay_alu instid0(VALU_DEP_2) | instskip(NEXT) | instid1(VALU_DEP_2)
	v_lshrrev_b32_e32 v16, s52, v16
	v_mul_lo_u32 v9, v9, s57
	s_delay_alu instid0(VALU_DEP_2) | instskip(NEXT) | instid1(VALU_DEP_2)
	v_mul_hi_u32 v40, s54, v16
	v_add3_u32 v7, v41, v7, v9
	s_delay_alu instid0(VALU_DEP_2) | instskip(NEXT) | instid1(VALU_DEP_1)
	v_add_nc_u32_e32 v40, v16, v40
	v_lshrrev_b32_e32 v8, s55, v40
	v_mul_lo_u32 v40, v16, s50
	s_delay_alu instid0(VALU_DEP_2) | instskip(NEXT) | instid1(VALU_DEP_2)
	v_mul_lo_u32 v43, v8, s53
	v_sub_nc_u32_e32 v10, v10, v40
	s_delay_alu instid0(VALU_DEP_2) | instskip(NEXT) | instid1(VALU_DEP_2)
	v_sub_nc_u32_e32 v16, v16, v43
	v_mul_lo_u32 v10, v10, s58
	s_delay_alu instid0(VALU_DEP_2) | instskip(NEXT) | instid1(VALU_DEP_1)
	v_mul_lo_u32 v16, v16, s59
	v_add3_u32 v7, v10, v7, v16
	s_cbranch_scc1 .LBB15_24
; %bb.25:                               ;   in Loop: Header=BB15_9 Depth=1
	s_mov_b32 s22, s36
	s_and_not1_b32 vcc_lo, exec_lo, s38
	s_cbranch_vccz .LBB15_28
	s_branch .LBB15_30
.LBB15_26:                              ;   in Loop: Header=BB15_9 Depth=1
                                        ; implicit-def: $vgpr7
	s_branch .LBB15_31
.LBB15_27:                              ;   in Loop: Header=BB15_9 Depth=1
	v_mov_b32_e32 v8, v13
	s_and_not1_b32 vcc_lo, exec_lo, s38
	s_cbranch_vccnz .LBB15_30
.LBB15_28:                              ;   in Loop: Header=BB15_9 Depth=1
	s_lshl_b32 s23, s22, 2
	s_mul_i32 s24, s22, 12
	s_add_u32 s22, s0, s23
	s_addc_u32 s23, s1, 0
	s_add_u32 s24, s18, s24
	s_addc_u32 s25, s19, 0
	s_mov_b32 s40, s33
	.p2align	6
.LBB15_29:                              ;   Parent Loop BB15_9 Depth=1
                                        ; =>  This Inner Loop Header: Depth=2
	s_clause 0x1
	s_load_b64 s[42:43], s[24:25], 0x4
	s_load_b32 s41, s[24:25], 0xc
	s_add_u32 s24, s24, 12
	s_addc_u32 s25, s25, 0
	s_waitcnt lgkmcnt(0)
	v_mul_hi_u32 v9, s43, v8
	s_load_b32 s43, s[22:23], 0x0
	s_add_u32 s22, s22, 4
	s_addc_u32 s23, s23, 0
	s_add_i32 s40, s40, -1
	s_delay_alu instid0(SALU_CYCLE_1) | instskip(NEXT) | instid1(VALU_DEP_1)
	s_cmp_lg_u32 s40, 0
	v_add_nc_u32_e32 v9, v8, v9
	s_delay_alu instid0(VALU_DEP_1) | instskip(NEXT) | instid1(VALU_DEP_1)
	v_lshrrev_b32_e32 v16, s41, v9
	v_mul_lo_u32 v9, v16, s42
	s_delay_alu instid0(VALU_DEP_1) | instskip(SKIP_1) | instid1(VALU_DEP_1)
	v_sub_nc_u32_e32 v8, v8, v9
	s_waitcnt lgkmcnt(0)
	v_mad_u64_u32 v[9:10], null, v8, s43, v[7:8]
	s_delay_alu instid0(VALU_DEP_1)
	v_dual_mov_b32 v8, v16 :: v_dual_mov_b32 v7, v9
	s_cbranch_scc1 .LBB15_29
.LBB15_30:                              ;   in Loop: Header=BB15_9 Depth=1
	s_cbranch_execnz .LBB15_33
.LBB15_31:                              ;   in Loop: Header=BB15_9 Depth=1
	v_mul_hi_u32 v7, v13, s6
	s_and_not1_b32 vcc_lo, exec_lo, s9
	s_delay_alu instid0(VALU_DEP_1) | instskip(NEXT) | instid1(VALU_DEP_1)
	v_add_nc_u32_e32 v7, v7, v13
	v_lshrrev_b32_e32 v8, s7, v7
	s_delay_alu instid0(VALU_DEP_1) | instskip(NEXT) | instid1(VALU_DEP_1)
	v_mul_lo_u32 v7, v8, s5
	v_sub_nc_u32_e32 v7, v13, v7
	s_delay_alu instid0(VALU_DEP_1)
	v_mul_lo_u32 v7, v7, s20
	s_cbranch_vccnz .LBB15_33
; %bb.32:                               ;   in Loop: Header=BB15_9 Depth=1
	v_mul_hi_u32 v9, s4, v8
	s_delay_alu instid0(VALU_DEP_1) | instskip(NEXT) | instid1(VALU_DEP_1)
	v_add_nc_u32_e32 v9, v8, v9
	v_lshrrev_b32_e32 v9, s10, v9
	s_delay_alu instid0(VALU_DEP_1) | instskip(NEXT) | instid1(VALU_DEP_1)
	v_mul_lo_u32 v9, v9, s8
	v_sub_nc_u32_e32 v10, v8, v9
	s_delay_alu instid0(VALU_DEP_1) | instskip(NEXT) | instid1(VALU_DEP_1)
	v_mad_u64_u32 v[8:9], null, v10, s21, v[7:8]
	v_mov_b32_e32 v7, v8
.LBB15_33:                              ;   in Loop: Header=BB15_9 Depth=1
	v_cvt_f32_u32_e32 v0, v0
	s_delay_alu instid0(VALU_DEP_1) | instskip(NEXT) | instid1(VALU_DEP_1)
	v_fmaak_f32 v0, 0x2f800000, v0, 0x2f800000
	v_fma_f32 v0, v0, s14, s30
	s_delay_alu instid0(VALU_DEP_1) | instskip(SKIP_1) | instid1(VALU_DEP_2)
	v_bfe_u32 v8, v0, 16, 1
	v_cmp_o_f32_e32 vcc_lo, v0, v0
	v_add3_u32 v8, v0, v8, 0x7fff
	s_delay_alu instid0(VALU_DEP_1) | instskip(NEXT) | instid1(VALU_DEP_1)
	v_lshrrev_b32_e32 v8, 16, v8
	v_cndmask_b32_e32 v0, 0x7fc0, v8, vcc_lo
	s_delay_alu instid0(VALU_DEP_1) | instskip(NEXT) | instid1(VALU_DEP_1)
	v_lshlrev_b32_e32 v8, 16, v0
	v_cmp_eq_f32_e32 vcc_lo, s34, v8
	v_cndmask_b32_e64 v0, v0, s15, vcc_lo
	global_store_b16 v7, v0, s[12:13]
.LBB15_34:                              ;   in Loop: Header=BB15_9 Depth=1
	s_or_b32 exec_lo, exec_lo, s39
	v_add_co_u32 v7, vcc_lo, v13, s26
	v_add_co_ci_u32_e32 v8, vcc_lo, 0, v14, vcc_lo
	s_mov_b32 s39, exec_lo
	s_delay_alu instid0(VALU_DEP_1)
	v_cmpx_gt_i64_e64 s[16:17], v[7:8]
	s_cbranch_execz .LBB15_49
; %bb.35:                               ;   in Loop: Header=BB15_9 Depth=1
	s_and_not1_b32 vcc_lo, exec_lo, s11
	s_cbranch_vccnz .LBB15_41
; %bb.36:                               ;   in Loop: Header=BB15_9 Depth=1
	v_mov_b32_e32 v0, 0
	s_and_not1_b32 vcc_lo, exec_lo, s29
	s_cbranch_vccnz .LBB15_45
; %bb.37:                               ;   in Loop: Header=BB15_9 Depth=1
	s_and_not1_b32 vcc_lo, exec_lo, s35
	s_mov_b32 s22, 0
	s_cbranch_vccnz .LBB15_42
; %bb.38:                               ;   in Loop: Header=BB15_9 Depth=1
	v_mov_b32_e32 v0, 0
	v_mov_b32_e32 v8, v7
	s_mov_b32 s40, 0
	s_mov_b64 s[22:23], s[18:19]
	s_mov_b64 s[24:25], s[0:1]
.LBB15_39:                              ;   Parent Loop BB15_9 Depth=1
                                        ; =>  This Inner Loop Header: Depth=2
	s_clause 0x1
	s_load_b256 s[44:51], s[22:23], 0x4
	s_load_b128 s[52:55], s[22:23], 0x24
	s_load_b128 s[56:59], s[24:25], 0x0
	s_add_u32 s22, s22, 48
	s_addc_u32 s23, s23, 0
	s_add_i32 s40, s40, 4
	s_add_u32 s24, s24, 16
	s_addc_u32 s25, s25, 0
	s_cmp_eq_u32 s36, s40
	s_waitcnt lgkmcnt(0)
	v_mul_hi_u32 v9, s45, v8
	s_delay_alu instid0(VALU_DEP_1) | instskip(NEXT) | instid1(VALU_DEP_1)
	v_add_nc_u32_e32 v9, v8, v9
	v_lshrrev_b32_e32 v9, s46, v9
	s_delay_alu instid0(VALU_DEP_1) | instskip(SKIP_1) | instid1(VALU_DEP_2)
	v_mul_hi_u32 v10, s48, v9
	v_mul_lo_u32 v41, v9, s44
	v_add_nc_u32_e32 v10, v9, v10
	s_delay_alu instid0(VALU_DEP_2) | instskip(NEXT) | instid1(VALU_DEP_2)
	v_sub_nc_u32_e32 v41, v8, v41
	v_lshrrev_b32_e32 v10, s49, v10
	s_delay_alu instid0(VALU_DEP_2) | instskip(NEXT) | instid1(VALU_DEP_2)
	v_mul_lo_u32 v41, v41, s56
	v_mul_hi_u32 v16, s51, v10
	v_mul_lo_u32 v42, v10, s47
	s_delay_alu instid0(VALU_DEP_2) | instskip(NEXT) | instid1(VALU_DEP_2)
	v_add_nc_u32_e32 v16, v10, v16
	v_sub_nc_u32_e32 v9, v9, v42
	s_delay_alu instid0(VALU_DEP_2) | instskip(NEXT) | instid1(VALU_DEP_2)
	v_lshrrev_b32_e32 v16, s52, v16
	v_mul_lo_u32 v9, v9, s57
	s_delay_alu instid0(VALU_DEP_2) | instskip(NEXT) | instid1(VALU_DEP_2)
	v_mul_hi_u32 v40, s54, v16
	v_add3_u32 v0, v41, v0, v9
	s_delay_alu instid0(VALU_DEP_2) | instskip(NEXT) | instid1(VALU_DEP_1)
	v_add_nc_u32_e32 v40, v16, v40
	v_lshrrev_b32_e32 v8, s55, v40
	v_mul_lo_u32 v40, v16, s50
	s_delay_alu instid0(VALU_DEP_2) | instskip(NEXT) | instid1(VALU_DEP_2)
	v_mul_lo_u32 v43, v8, s53
	v_sub_nc_u32_e32 v10, v10, v40
	s_delay_alu instid0(VALU_DEP_2) | instskip(NEXT) | instid1(VALU_DEP_2)
	v_sub_nc_u32_e32 v16, v16, v43
	v_mul_lo_u32 v10, v10, s58
	s_delay_alu instid0(VALU_DEP_2) | instskip(NEXT) | instid1(VALU_DEP_1)
	v_mul_lo_u32 v16, v16, s59
	v_add3_u32 v0, v10, v0, v16
	s_cbranch_scc0 .LBB15_39
; %bb.40:                               ;   in Loop: Header=BB15_9 Depth=1
	s_mov_b32 s22, s36
	s_and_not1_b32 vcc_lo, exec_lo, s38
	s_cbranch_vccz .LBB15_43
	s_branch .LBB15_45
.LBB15_41:                              ;   in Loop: Header=BB15_9 Depth=1
                                        ; implicit-def: $vgpr0
	s_branch .LBB15_46
.LBB15_42:                              ;   in Loop: Header=BB15_9 Depth=1
	v_mov_b32_e32 v8, v7
	s_and_not1_b32 vcc_lo, exec_lo, s38
	s_cbranch_vccnz .LBB15_45
.LBB15_43:                              ;   in Loop: Header=BB15_9 Depth=1
	s_lshl_b32 s23, s22, 2
	s_mul_i32 s24, s22, 12
	s_add_u32 s22, s0, s23
	s_addc_u32 s23, s1, 0
	s_add_u32 s24, s18, s24
	s_addc_u32 s25, s19, 0
	s_mov_b32 s40, s33
	.p2align	6
.LBB15_44:                              ;   Parent Loop BB15_9 Depth=1
                                        ; =>  This Inner Loop Header: Depth=2
	s_clause 0x1
	s_load_b64 s[42:43], s[24:25], 0x4
	s_load_b32 s41, s[24:25], 0xc
	s_add_u32 s24, s24, 12
	s_addc_u32 s25, s25, 0
	s_waitcnt lgkmcnt(0)
	v_mul_hi_u32 v9, s43, v8
	s_load_b32 s43, s[22:23], 0x0
	s_add_u32 s22, s22, 4
	s_addc_u32 s23, s23, 0
	s_add_i32 s40, s40, -1
	s_delay_alu instid0(SALU_CYCLE_1) | instskip(NEXT) | instid1(VALU_DEP_1)
	s_cmp_lg_u32 s40, 0
	v_add_nc_u32_e32 v9, v8, v9
	s_delay_alu instid0(VALU_DEP_1) | instskip(NEXT) | instid1(VALU_DEP_1)
	v_lshrrev_b32_e32 v16, s41, v9
	v_mul_lo_u32 v9, v16, s42
	s_delay_alu instid0(VALU_DEP_1) | instskip(SKIP_1) | instid1(VALU_DEP_1)
	v_sub_nc_u32_e32 v8, v8, v9
	s_waitcnt lgkmcnt(0)
	v_mad_u64_u32 v[9:10], null, v8, s43, v[0:1]
	v_mov_b32_e32 v8, v16
	s_delay_alu instid0(VALU_DEP_2)
	v_mov_b32_e32 v0, v9
	s_cbranch_scc1 .LBB15_44
.LBB15_45:                              ;   in Loop: Header=BB15_9 Depth=1
	s_cbranch_execnz .LBB15_48
.LBB15_46:                              ;   in Loop: Header=BB15_9 Depth=1
	v_mul_hi_u32 v0, v7, s6
	s_and_not1_b32 vcc_lo, exec_lo, s9
	s_delay_alu instid0(VALU_DEP_1) | instskip(NEXT) | instid1(VALU_DEP_1)
	v_add_nc_u32_e32 v0, v0, v7
	v_lshrrev_b32_e32 v8, s7, v0
	s_delay_alu instid0(VALU_DEP_1) | instskip(NEXT) | instid1(VALU_DEP_1)
	v_mul_lo_u32 v0, v8, s5
	v_sub_nc_u32_e32 v0, v7, v0
	s_delay_alu instid0(VALU_DEP_1)
	v_mul_lo_u32 v0, v0, s20
	s_cbranch_vccnz .LBB15_48
; %bb.47:                               ;   in Loop: Header=BB15_9 Depth=1
	v_mul_hi_u32 v7, s4, v8
	s_delay_alu instid0(VALU_DEP_1) | instskip(NEXT) | instid1(VALU_DEP_1)
	v_add_nc_u32_e32 v7, v8, v7
	v_lshrrev_b32_e32 v7, s10, v7
	s_delay_alu instid0(VALU_DEP_1) | instskip(NEXT) | instid1(VALU_DEP_1)
	v_mul_lo_u32 v7, v7, s8
	v_sub_nc_u32_e32 v9, v8, v7
	s_delay_alu instid0(VALU_DEP_1) | instskip(NEXT) | instid1(VALU_DEP_1)
	v_mad_u64_u32 v[7:8], null, v9, s21, v[0:1]
	v_mov_b32_e32 v0, v7
.LBB15_48:                              ;   in Loop: Header=BB15_9 Depth=1
	v_cvt_f32_u32_e32 v1, v1
	s_delay_alu instid0(VALU_DEP_1) | instskip(NEXT) | instid1(VALU_DEP_1)
	v_fmaak_f32 v1, 0x2f800000, v1, 0x2f800000
	v_fma_f32 v1, v1, s14, s30
	s_delay_alu instid0(VALU_DEP_1) | instskip(SKIP_1) | instid1(VALU_DEP_2)
	v_bfe_u32 v7, v1, 16, 1
	v_cmp_o_f32_e32 vcc_lo, v1, v1
	v_add3_u32 v7, v1, v7, 0x7fff
	s_delay_alu instid0(VALU_DEP_1) | instskip(NEXT) | instid1(VALU_DEP_1)
	v_lshrrev_b32_e32 v7, 16, v7
	v_cndmask_b32_e32 v1, 0x7fc0, v7, vcc_lo
	s_delay_alu instid0(VALU_DEP_1) | instskip(NEXT) | instid1(VALU_DEP_1)
	v_lshlrev_b32_e32 v7, 16, v1
	v_cmp_eq_f32_e32 vcc_lo, s34, v7
	v_cndmask_b32_e64 v1, v1, s15, vcc_lo
	global_store_b16 v0, v1, s[12:13]
.LBB15_49:                              ;   in Loop: Header=BB15_9 Depth=1
	s_or_b32 exec_lo, exec_lo, s39
	v_add_co_u32 v0, vcc_lo, v13, s31
	v_add_co_ci_u32_e32 v1, vcc_lo, 0, v14, vcc_lo
	s_mov_b32 s39, exec_lo
	s_delay_alu instid0(VALU_DEP_1)
	v_cmpx_gt_i64_e64 s[16:17], v[0:1]
	s_cbranch_execz .LBB15_64
; %bb.50:                               ;   in Loop: Header=BB15_9 Depth=1
	s_and_not1_b32 vcc_lo, exec_lo, s11
	s_cbranch_vccnz .LBB15_56
; %bb.51:                               ;   in Loop: Header=BB15_9 Depth=1
	v_mov_b32_e32 v1, 0
	s_and_not1_b32 vcc_lo, exec_lo, s29
	s_cbranch_vccnz .LBB15_60
; %bb.52:                               ;   in Loop: Header=BB15_9 Depth=1
	s_and_not1_b32 vcc_lo, exec_lo, s35
	s_mov_b32 s22, 0
	s_cbranch_vccnz .LBB15_57
; %bb.53:                               ;   in Loop: Header=BB15_9 Depth=1
	v_mov_b32_e32 v1, 0
	v_mov_b32_e32 v7, v0
	s_mov_b32 s40, 0
	s_mov_b64 s[22:23], s[18:19]
	s_mov_b64 s[24:25], s[0:1]
.LBB15_54:                              ;   Parent Loop BB15_9 Depth=1
                                        ; =>  This Inner Loop Header: Depth=2
	s_clause 0x1
	s_load_b256 s[44:51], s[22:23], 0x4
	s_load_b128 s[52:55], s[22:23], 0x24
	s_load_b128 s[56:59], s[24:25], 0x0
	s_add_u32 s22, s22, 48
	s_addc_u32 s23, s23, 0
	s_add_i32 s40, s40, 4
	s_add_u32 s24, s24, 16
	s_addc_u32 s25, s25, 0
	s_cmp_eq_u32 s36, s40
	s_waitcnt lgkmcnt(0)
	v_mul_hi_u32 v8, s45, v7
	s_delay_alu instid0(VALU_DEP_1) | instskip(NEXT) | instid1(VALU_DEP_1)
	v_add_nc_u32_e32 v8, v7, v8
	v_lshrrev_b32_e32 v8, s46, v8
	s_delay_alu instid0(VALU_DEP_1) | instskip(SKIP_1) | instid1(VALU_DEP_2)
	v_mul_hi_u32 v9, s48, v8
	v_mul_lo_u32 v40, v8, s44
	v_add_nc_u32_e32 v9, v8, v9
	s_delay_alu instid0(VALU_DEP_2) | instskip(NEXT) | instid1(VALU_DEP_2)
	v_sub_nc_u32_e32 v40, v7, v40
	v_lshrrev_b32_e32 v9, s49, v9
	s_delay_alu instid0(VALU_DEP_2) | instskip(NEXT) | instid1(VALU_DEP_2)
	v_mul_lo_u32 v40, v40, s56
	v_mul_hi_u32 v10, s51, v9
	v_mul_lo_u32 v41, v9, s47
	s_delay_alu instid0(VALU_DEP_2) | instskip(NEXT) | instid1(VALU_DEP_2)
	v_add_nc_u32_e32 v10, v9, v10
	v_sub_nc_u32_e32 v8, v8, v41
	s_delay_alu instid0(VALU_DEP_2) | instskip(NEXT) | instid1(VALU_DEP_2)
	v_lshrrev_b32_e32 v10, s52, v10
	v_mul_lo_u32 v8, v8, s57
	s_delay_alu instid0(VALU_DEP_2) | instskip(NEXT) | instid1(VALU_DEP_2)
	v_mul_hi_u32 v16, s54, v10
	v_add3_u32 v1, v40, v1, v8
	s_delay_alu instid0(VALU_DEP_2) | instskip(NEXT) | instid1(VALU_DEP_1)
	v_add_nc_u32_e32 v16, v10, v16
	v_lshrrev_b32_e32 v7, s55, v16
	v_mul_lo_u32 v16, v10, s50
	s_delay_alu instid0(VALU_DEP_2) | instskip(NEXT) | instid1(VALU_DEP_2)
	v_mul_lo_u32 v42, v7, s53
	v_sub_nc_u32_e32 v9, v9, v16
	s_delay_alu instid0(VALU_DEP_2) | instskip(NEXT) | instid1(VALU_DEP_2)
	v_sub_nc_u32_e32 v10, v10, v42
	v_mul_lo_u32 v9, v9, s58
	s_delay_alu instid0(VALU_DEP_2) | instskip(NEXT) | instid1(VALU_DEP_1)
	v_mul_lo_u32 v10, v10, s59
	v_add3_u32 v1, v9, v1, v10
	s_cbranch_scc0 .LBB15_54
; %bb.55:                               ;   in Loop: Header=BB15_9 Depth=1
	s_mov_b32 s22, s36
	s_and_not1_b32 vcc_lo, exec_lo, s38
	s_cbranch_vccz .LBB15_58
	s_branch .LBB15_60
.LBB15_56:                              ;   in Loop: Header=BB15_9 Depth=1
                                        ; implicit-def: $vgpr1
	s_branch .LBB15_61
.LBB15_57:                              ;   in Loop: Header=BB15_9 Depth=1
	v_mov_b32_e32 v7, v0
	s_and_not1_b32 vcc_lo, exec_lo, s38
	s_cbranch_vccnz .LBB15_60
.LBB15_58:                              ;   in Loop: Header=BB15_9 Depth=1
	s_lshl_b32 s23, s22, 2
	s_mul_i32 s24, s22, 12
	s_add_u32 s22, s0, s23
	s_addc_u32 s23, s1, 0
	s_add_u32 s24, s18, s24
	s_addc_u32 s25, s19, 0
	s_mov_b32 s40, s33
	.p2align	6
.LBB15_59:                              ;   Parent Loop BB15_9 Depth=1
                                        ; =>  This Inner Loop Header: Depth=2
	s_clause 0x1
	s_load_b64 s[42:43], s[24:25], 0x4
	s_load_b32 s41, s[24:25], 0xc
	s_add_u32 s24, s24, 12
	s_addc_u32 s25, s25, 0
	s_waitcnt lgkmcnt(0)
	v_mul_hi_u32 v8, s43, v7
	s_load_b32 s43, s[22:23], 0x0
	s_add_u32 s22, s22, 4
	s_addc_u32 s23, s23, 0
	s_add_i32 s40, s40, -1
	s_delay_alu instid0(SALU_CYCLE_1) | instskip(NEXT) | instid1(VALU_DEP_1)
	s_cmp_lg_u32 s40, 0
	v_add_nc_u32_e32 v8, v7, v8
	s_delay_alu instid0(VALU_DEP_1) | instskip(NEXT) | instid1(VALU_DEP_1)
	v_lshrrev_b32_e32 v10, s41, v8
	v_mul_lo_u32 v8, v10, s42
	s_delay_alu instid0(VALU_DEP_1) | instskip(SKIP_1) | instid1(VALU_DEP_1)
	v_sub_nc_u32_e32 v7, v7, v8
	s_waitcnt lgkmcnt(0)
	v_mad_u64_u32 v[8:9], null, v7, s43, v[1:2]
	v_mov_b32_e32 v7, v10
	s_delay_alu instid0(VALU_DEP_2)
	v_mov_b32_e32 v1, v8
	s_cbranch_scc1 .LBB15_59
.LBB15_60:                              ;   in Loop: Header=BB15_9 Depth=1
	s_cbranch_execnz .LBB15_63
.LBB15_61:                              ;   in Loop: Header=BB15_9 Depth=1
	v_mul_hi_u32 v1, v0, s6
	s_and_not1_b32 vcc_lo, exec_lo, s9
	s_delay_alu instid0(VALU_DEP_1) | instskip(NEXT) | instid1(VALU_DEP_1)
	v_add_nc_u32_e32 v1, v1, v0
	v_lshrrev_b32_e32 v7, s7, v1
	s_delay_alu instid0(VALU_DEP_1) | instskip(NEXT) | instid1(VALU_DEP_1)
	v_mul_lo_u32 v1, v7, s5
	v_sub_nc_u32_e32 v0, v0, v1
	s_delay_alu instid0(VALU_DEP_1)
	v_mul_lo_u32 v1, v0, s20
	s_cbranch_vccnz .LBB15_63
; %bb.62:                               ;   in Loop: Header=BB15_9 Depth=1
	v_mul_hi_u32 v0, s4, v7
	s_delay_alu instid0(VALU_DEP_1) | instskip(NEXT) | instid1(VALU_DEP_1)
	v_add_nc_u32_e32 v0, v7, v0
	v_lshrrev_b32_e32 v0, s10, v0
	s_delay_alu instid0(VALU_DEP_1) | instskip(NEXT) | instid1(VALU_DEP_1)
	v_mul_lo_u32 v0, v0, s8
	v_sub_nc_u32_e32 v0, v7, v0
	s_delay_alu instid0(VALU_DEP_1) | instskip(NEXT) | instid1(VALU_DEP_1)
	v_mad_u64_u32 v[7:8], null, v0, s21, v[1:2]
	v_mov_b32_e32 v1, v7
.LBB15_63:                              ;   in Loop: Header=BB15_9 Depth=1
	v_cvt_f32_u32_e32 v0, v2
	s_delay_alu instid0(VALU_DEP_1) | instskip(NEXT) | instid1(VALU_DEP_1)
	v_fmaak_f32 v0, 0x2f800000, v0, 0x2f800000
	v_fma_f32 v0, v0, s14, s30
	s_delay_alu instid0(VALU_DEP_1) | instskip(SKIP_1) | instid1(VALU_DEP_2)
	v_bfe_u32 v2, v0, 16, 1
	v_cmp_o_f32_e32 vcc_lo, v0, v0
	v_add3_u32 v2, v0, v2, 0x7fff
	s_delay_alu instid0(VALU_DEP_1) | instskip(NEXT) | instid1(VALU_DEP_1)
	v_lshrrev_b32_e32 v2, 16, v2
	v_cndmask_b32_e32 v0, 0x7fc0, v2, vcc_lo
	s_delay_alu instid0(VALU_DEP_1) | instskip(NEXT) | instid1(VALU_DEP_1)
	v_lshlrev_b32_e32 v2, 16, v0
	v_cmp_eq_f32_e32 vcc_lo, s34, v2
	v_cndmask_b32_e64 v0, v0, s15, vcc_lo
	global_store_b16 v1, v0, s[12:13]
.LBB15_64:                              ;   in Loop: Header=BB15_9 Depth=1
	s_or_b32 exec_lo, exec_lo, s39
	v_add_co_u32 v0, vcc_lo, v13, s37
	v_add_co_ci_u32_e32 v1, vcc_lo, 0, v14, vcc_lo
	s_mov_b32 s39, exec_lo
	s_delay_alu instid0(VALU_DEP_1)
	v_cmpx_gt_i64_e64 s[16:17], v[0:1]
	s_cbranch_execz .LBB15_8
; %bb.65:                               ;   in Loop: Header=BB15_9 Depth=1
	s_and_not1_b32 vcc_lo, exec_lo, s11
	s_cbranch_vccnz .LBB15_71
; %bb.66:                               ;   in Loop: Header=BB15_9 Depth=1
	v_mov_b32_e32 v1, 0
	s_and_not1_b32 vcc_lo, exec_lo, s29
	s_cbranch_vccnz .LBB15_75
; %bb.67:                               ;   in Loop: Header=BB15_9 Depth=1
	s_and_not1_b32 vcc_lo, exec_lo, s35
	s_mov_b32 s22, 0
	s_cbranch_vccnz .LBB15_72
; %bb.68:                               ;   in Loop: Header=BB15_9 Depth=1
	v_dual_mov_b32 v1, 0 :: v_dual_mov_b32 v2, v0
	s_mov_b32 s40, 0
	s_mov_b64 s[22:23], s[18:19]
	s_mov_b64 s[24:25], s[0:1]
.LBB15_69:                              ;   Parent Loop BB15_9 Depth=1
                                        ; =>  This Inner Loop Header: Depth=2
	s_clause 0x1
	s_load_b256 s[44:51], s[22:23], 0x4
	s_load_b128 s[52:55], s[22:23], 0x24
	s_load_b128 s[56:59], s[24:25], 0x0
	s_add_u32 s22, s22, 48
	s_addc_u32 s23, s23, 0
	s_add_i32 s40, s40, 4
	s_add_u32 s24, s24, 16
	s_addc_u32 s25, s25, 0
	s_cmp_eq_u32 s36, s40
	s_waitcnt lgkmcnt(0)
	v_mul_hi_u32 v7, s45, v2
	s_delay_alu instid0(VALU_DEP_1) | instskip(NEXT) | instid1(VALU_DEP_1)
	v_add_nc_u32_e32 v7, v2, v7
	v_lshrrev_b32_e32 v7, s46, v7
	s_delay_alu instid0(VALU_DEP_1) | instskip(SKIP_1) | instid1(VALU_DEP_2)
	v_mul_hi_u32 v8, s48, v7
	v_mul_lo_u32 v16, v7, s44
	v_add_nc_u32_e32 v8, v7, v8
	s_delay_alu instid0(VALU_DEP_2) | instskip(NEXT) | instid1(VALU_DEP_2)
	v_sub_nc_u32_e32 v16, v2, v16
	v_lshrrev_b32_e32 v8, s49, v8
	s_delay_alu instid0(VALU_DEP_2) | instskip(NEXT) | instid1(VALU_DEP_2)
	v_mul_lo_u32 v16, v16, s56
	v_mul_hi_u32 v9, s51, v8
	v_mul_lo_u32 v40, v8, s47
	s_delay_alu instid0(VALU_DEP_2) | instskip(NEXT) | instid1(VALU_DEP_2)
	v_add_nc_u32_e32 v9, v8, v9
	v_sub_nc_u32_e32 v7, v7, v40
	s_delay_alu instid0(VALU_DEP_2) | instskip(NEXT) | instid1(VALU_DEP_2)
	v_lshrrev_b32_e32 v9, s52, v9
	v_mul_lo_u32 v7, v7, s57
	s_delay_alu instid0(VALU_DEP_2) | instskip(NEXT) | instid1(VALU_DEP_2)
	v_mul_hi_u32 v10, s54, v9
	v_add3_u32 v1, v16, v1, v7
	s_delay_alu instid0(VALU_DEP_2) | instskip(NEXT) | instid1(VALU_DEP_1)
	v_add_nc_u32_e32 v10, v9, v10
	v_lshrrev_b32_e32 v2, s55, v10
	v_mul_lo_u32 v10, v9, s50
	s_delay_alu instid0(VALU_DEP_2) | instskip(NEXT) | instid1(VALU_DEP_2)
	v_mul_lo_u32 v41, v2, s53
	v_sub_nc_u32_e32 v8, v8, v10
	s_delay_alu instid0(VALU_DEP_2) | instskip(NEXT) | instid1(VALU_DEP_2)
	v_sub_nc_u32_e32 v9, v9, v41
	v_mul_lo_u32 v8, v8, s58
	s_delay_alu instid0(VALU_DEP_2) | instskip(NEXT) | instid1(VALU_DEP_1)
	v_mul_lo_u32 v9, v9, s59
	v_add3_u32 v1, v8, v1, v9
	s_cbranch_scc0 .LBB15_69
; %bb.70:                               ;   in Loop: Header=BB15_9 Depth=1
	s_mov_b32 s22, s36
	s_and_not1_b32 vcc_lo, exec_lo, s38
	s_cbranch_vccz .LBB15_73
	s_branch .LBB15_75
.LBB15_71:                              ;   in Loop: Header=BB15_9 Depth=1
                                        ; implicit-def: $vgpr1
	s_branch .LBB15_76
.LBB15_72:                              ;   in Loop: Header=BB15_9 Depth=1
	v_mov_b32_e32 v2, v0
	s_and_not1_b32 vcc_lo, exec_lo, s38
	s_cbranch_vccnz .LBB15_75
.LBB15_73:                              ;   in Loop: Header=BB15_9 Depth=1
	s_lshl_b32 s23, s22, 2
	s_mul_i32 s24, s22, 12
	s_add_u32 s22, s0, s23
	s_addc_u32 s23, s1, 0
	s_add_u32 s24, s18, s24
	s_addc_u32 s25, s19, 0
	s_mov_b32 s40, s33
	.p2align	6
.LBB15_74:                              ;   Parent Loop BB15_9 Depth=1
                                        ; =>  This Inner Loop Header: Depth=2
	s_clause 0x1
	s_load_b64 s[42:43], s[24:25], 0x4
	s_load_b32 s41, s[24:25], 0xc
	s_add_u32 s24, s24, 12
	s_addc_u32 s25, s25, 0
	s_waitcnt lgkmcnt(0)
	v_mul_hi_u32 v7, s43, v2
	s_load_b32 s43, s[22:23], 0x0
	s_add_u32 s22, s22, 4
	s_addc_u32 s23, s23, 0
	s_add_i32 s40, s40, -1
	s_delay_alu instid0(SALU_CYCLE_1) | instskip(NEXT) | instid1(VALU_DEP_1)
	s_cmp_lg_u32 s40, 0
	v_add_nc_u32_e32 v7, v2, v7
	s_delay_alu instid0(VALU_DEP_1) | instskip(NEXT) | instid1(VALU_DEP_1)
	v_lshrrev_b32_e32 v9, s41, v7
	v_mul_lo_u32 v7, v9, s42
	s_delay_alu instid0(VALU_DEP_1) | instskip(SKIP_1) | instid1(VALU_DEP_1)
	v_sub_nc_u32_e32 v2, v2, v7
	s_waitcnt lgkmcnt(0)
	v_mad_u64_u32 v[7:8], null, v2, s43, v[1:2]
	s_delay_alu instid0(VALU_DEP_1)
	v_dual_mov_b32 v2, v9 :: v_dual_mov_b32 v1, v7
	s_cbranch_scc1 .LBB15_74
.LBB15_75:                              ;   in Loop: Header=BB15_9 Depth=1
	s_cbranch_execnz .LBB15_7
.LBB15_76:                              ;   in Loop: Header=BB15_9 Depth=1
	v_mul_hi_u32 v1, v0, s6
	s_and_not1_b32 vcc_lo, exec_lo, s9
	s_delay_alu instid0(VALU_DEP_1) | instskip(NEXT) | instid1(VALU_DEP_1)
	v_add_nc_u32_e32 v1, v1, v0
	v_lshrrev_b32_e32 v2, s7, v1
	s_delay_alu instid0(VALU_DEP_1) | instskip(NEXT) | instid1(VALU_DEP_1)
	v_mul_lo_u32 v1, v2, s5
	v_sub_nc_u32_e32 v0, v0, v1
	s_delay_alu instid0(VALU_DEP_1)
	v_mul_lo_u32 v1, v0, s20
	s_cbranch_vccnz .LBB15_7
; %bb.77:                               ;   in Loop: Header=BB15_9 Depth=1
	v_mul_hi_u32 v0, s4, v2
	s_delay_alu instid0(VALU_DEP_1) | instskip(NEXT) | instid1(VALU_DEP_1)
	v_add_nc_u32_e32 v0, v2, v0
	v_lshrrev_b32_e32 v0, s10, v0
	s_delay_alu instid0(VALU_DEP_1) | instskip(NEXT) | instid1(VALU_DEP_1)
	v_mul_lo_u32 v0, v0, s8
	v_sub_nc_u32_e32 v0, v2, v0
	s_delay_alu instid0(VALU_DEP_1) | instskip(NEXT) | instid1(VALU_DEP_1)
	v_mad_u64_u32 v[7:8], null, v0, s21, v[1:2]
	v_mov_b32_e32 v1, v7
	s_branch .LBB15_7
.LBB15_78:
	s_endpgm
.LBB15_79:
                                        ; implicit-def: $sgpr2_sgpr3
	s_branch .LBB15_4
	.section	.rodata,"a",@progbits
	.p2align	6, 0x0
	.amdhsa_kernel _ZN2at6native12_GLOBAL__N_143distribution_elementwise_grid_stride_kernelIfLi4EZNS0_9templates4cuda21uniform_and_transformIN3c108BFloat16EfPNS_17CUDAGeneratorImplEZZZNS4_14uniform_kernelIS9_EEvRNS_18TensorIteratorBaseEddT_ENKUlvE_clEvENKUlvE2_clEvEUlfE_EEvSC_T1_T2_EUlP25hiprandStatePhilox4_32_10E0_ZNS1_27distribution_nullary_kernelIS7_f15HIP_vector_typeIfLj4EES9_SL_SG_EEvSC_SI_RKT3_T4_EUlifE0_EEvlNS_15PhiloxCudaStateESH_SI_
		.amdhsa_group_segment_fixed_size 0
		.amdhsa_private_segment_fixed_size 0
		.amdhsa_kernarg_size 584
		.amdhsa_user_sgpr_count 15
		.amdhsa_user_sgpr_dispatch_ptr 0
		.amdhsa_user_sgpr_queue_ptr 0
		.amdhsa_user_sgpr_kernarg_segment_ptr 1
		.amdhsa_user_sgpr_dispatch_id 0
		.amdhsa_user_sgpr_private_segment_size 0
		.amdhsa_wavefront_size32 1
		.amdhsa_uses_dynamic_stack 0
		.amdhsa_enable_private_segment 0
		.amdhsa_system_sgpr_workgroup_id_x 1
		.amdhsa_system_sgpr_workgroup_id_y 0
		.amdhsa_system_sgpr_workgroup_id_z 0
		.amdhsa_system_sgpr_workgroup_info 0
		.amdhsa_system_vgpr_workitem_id 0
		.amdhsa_next_free_vgpr 44
		.amdhsa_next_free_sgpr 60
		.amdhsa_reserve_vcc 1
		.amdhsa_float_round_mode_32 0
		.amdhsa_float_round_mode_16_64 0
		.amdhsa_float_denorm_mode_32 3
		.amdhsa_float_denorm_mode_16_64 3
		.amdhsa_dx10_clamp 1
		.amdhsa_ieee_mode 1
		.amdhsa_fp16_overflow 0
		.amdhsa_workgroup_processor_mode 1
		.amdhsa_memory_ordered 1
		.amdhsa_forward_progress 0
		.amdhsa_shared_vgpr_count 0
		.amdhsa_exception_fp_ieee_invalid_op 0
		.amdhsa_exception_fp_denorm_src 0
		.amdhsa_exception_fp_ieee_div_zero 0
		.amdhsa_exception_fp_ieee_overflow 0
		.amdhsa_exception_fp_ieee_underflow 0
		.amdhsa_exception_fp_ieee_inexact 0
		.amdhsa_exception_int_div_zero 0
	.end_amdhsa_kernel
	.section	.text._ZN2at6native12_GLOBAL__N_143distribution_elementwise_grid_stride_kernelIfLi4EZNS0_9templates4cuda21uniform_and_transformIN3c108BFloat16EfPNS_17CUDAGeneratorImplEZZZNS4_14uniform_kernelIS9_EEvRNS_18TensorIteratorBaseEddT_ENKUlvE_clEvENKUlvE2_clEvEUlfE_EEvSC_T1_T2_EUlP25hiprandStatePhilox4_32_10E0_ZNS1_27distribution_nullary_kernelIS7_f15HIP_vector_typeIfLj4EES9_SL_SG_EEvSC_SI_RKT3_T4_EUlifE0_EEvlNS_15PhiloxCudaStateESH_SI_,"axG",@progbits,_ZN2at6native12_GLOBAL__N_143distribution_elementwise_grid_stride_kernelIfLi4EZNS0_9templates4cuda21uniform_and_transformIN3c108BFloat16EfPNS_17CUDAGeneratorImplEZZZNS4_14uniform_kernelIS9_EEvRNS_18TensorIteratorBaseEddT_ENKUlvE_clEvENKUlvE2_clEvEUlfE_EEvSC_T1_T2_EUlP25hiprandStatePhilox4_32_10E0_ZNS1_27distribution_nullary_kernelIS7_f15HIP_vector_typeIfLj4EES9_SL_SG_EEvSC_SI_RKT3_T4_EUlifE0_EEvlNS_15PhiloxCudaStateESH_SI_,comdat
.Lfunc_end15:
	.size	_ZN2at6native12_GLOBAL__N_143distribution_elementwise_grid_stride_kernelIfLi4EZNS0_9templates4cuda21uniform_and_transformIN3c108BFloat16EfPNS_17CUDAGeneratorImplEZZZNS4_14uniform_kernelIS9_EEvRNS_18TensorIteratorBaseEddT_ENKUlvE_clEvENKUlvE2_clEvEUlfE_EEvSC_T1_T2_EUlP25hiprandStatePhilox4_32_10E0_ZNS1_27distribution_nullary_kernelIS7_f15HIP_vector_typeIfLj4EES9_SL_SG_EEvSC_SI_RKT3_T4_EUlifE0_EEvlNS_15PhiloxCudaStateESH_SI_, .Lfunc_end15-_ZN2at6native12_GLOBAL__N_143distribution_elementwise_grid_stride_kernelIfLi4EZNS0_9templates4cuda21uniform_and_transformIN3c108BFloat16EfPNS_17CUDAGeneratorImplEZZZNS4_14uniform_kernelIS9_EEvRNS_18TensorIteratorBaseEddT_ENKUlvE_clEvENKUlvE2_clEvEUlfE_EEvSC_T1_T2_EUlP25hiprandStatePhilox4_32_10E0_ZNS1_27distribution_nullary_kernelIS7_f15HIP_vector_typeIfLj4EES9_SL_SG_EEvSC_SI_RKT3_T4_EUlifE0_EEvlNS_15PhiloxCudaStateESH_SI_
                                        ; -- End function
	.section	.AMDGPU.csdata,"",@progbits
; Kernel info:
; codeLenInByte = 5500
; NumSgprs: 62
; NumVgprs: 44
; ScratchSize: 0
; MemoryBound: 0
; FloatMode: 240
; IeeeMode: 1
; LDSByteSize: 0 bytes/workgroup (compile time only)
; SGPRBlocks: 7
; VGPRBlocks: 5
; NumSGPRsForWavesPerEU: 62
; NumVGPRsForWavesPerEU: 44
; Occupancy: 16
; WaveLimiterHint : 1
; COMPUTE_PGM_RSRC2:SCRATCH_EN: 0
; COMPUTE_PGM_RSRC2:USER_SGPR: 15
; COMPUTE_PGM_RSRC2:TRAP_HANDLER: 0
; COMPUTE_PGM_RSRC2:TGID_X_EN: 1
; COMPUTE_PGM_RSRC2:TGID_Y_EN: 0
; COMPUTE_PGM_RSRC2:TGID_Z_EN: 0
; COMPUTE_PGM_RSRC2:TIDIG_COMP_CNT: 0
	.text
	.p2alignl 7, 3214868480
	.fill 96, 4, 3214868480
	.type	__hip_cuid_9708bc6dab194992,@object ; @__hip_cuid_9708bc6dab194992
	.section	.bss,"aw",@nobits
	.globl	__hip_cuid_9708bc6dab194992
__hip_cuid_9708bc6dab194992:
	.byte	0                               ; 0x0
	.size	__hip_cuid_9708bc6dab194992, 1

	.ident	"AMD clang version 19.0.0git (https://github.com/RadeonOpenCompute/llvm-project roc-6.4.0 25133 c7fe45cf4b819c5991fe208aaa96edf142730f1d)"
	.section	".note.GNU-stack","",@progbits
	.addrsig
	.addrsig_sym __hip_cuid_9708bc6dab194992
	.amdgpu_metadata
---
amdhsa.kernels:
  - .args:
      - .offset:         0
        .size:           8
        .value_kind:     by_value
      - .offset:         8
        .size:           32
        .value_kind:     by_value
      - .offset:         40
        .size:           1
        .value_kind:     by_value
      - .offset:         48
        .size:           40
        .value_kind:     by_value
      - .offset:         88
        .size:           4
        .value_kind:     hidden_block_count_x
      - .offset:         92
        .size:           4
        .value_kind:     hidden_block_count_y
      - .offset:         96
        .size:           4
        .value_kind:     hidden_block_count_z
      - .offset:         100
        .size:           2
        .value_kind:     hidden_group_size_x
      - .offset:         102
        .size:           2
        .value_kind:     hidden_group_size_y
      - .offset:         104
        .size:           2
        .value_kind:     hidden_group_size_z
      - .offset:         106
        .size:           2
        .value_kind:     hidden_remainder_x
      - .offset:         108
        .size:           2
        .value_kind:     hidden_remainder_y
      - .offset:         110
        .size:           2
        .value_kind:     hidden_remainder_z
      - .offset:         128
        .size:           8
        .value_kind:     hidden_global_offset_x
      - .offset:         136
        .size:           8
        .value_kind:     hidden_global_offset_y
      - .offset:         144
        .size:           8
        .value_kind:     hidden_global_offset_z
      - .offset:         152
        .size:           2
        .value_kind:     hidden_grid_dims
    .group_segment_fixed_size: 0
    .kernarg_segment_align: 8
    .kernarg_segment_size: 344
    .language:       OpenCL C
    .language_version:
      - 2
      - 0
    .max_flat_workgroup_size: 256
    .name:           _ZN2at6native12_GLOBAL__N_143distribution_elementwise_grid_stride_kernelIdLi2EZNS0_9templates4cuda21uniform_and_transformIddPNS_17CUDAGeneratorImplEZZZNS4_14uniform_kernelIS7_EEvRNS_18TensorIteratorBaseEddT_ENKUlvE_clEvENKUlvE_clEvEUldE_EEvSA_T1_T2_EUlP25hiprandStatePhilox4_32_10E_ZNS1_27distribution_nullary_kernelIdd15HIP_vector_typeIdLj2EES7_SJ_SE_EEvSA_SG_RKT3_T4_EUlidE_EEvlNS_15PhiloxCudaStateESF_SG_
    .private_segment_fixed_size: 0
    .sgpr_count:     25
    .sgpr_spill_count: 0
    .symbol:         _ZN2at6native12_GLOBAL__N_143distribution_elementwise_grid_stride_kernelIdLi2EZNS0_9templates4cuda21uniform_and_transformIddPNS_17CUDAGeneratorImplEZZZNS4_14uniform_kernelIS7_EEvRNS_18TensorIteratorBaseEddT_ENKUlvE_clEvENKUlvE_clEvEUldE_EEvSA_T1_T2_EUlP25hiprandStatePhilox4_32_10E_ZNS1_27distribution_nullary_kernelIdd15HIP_vector_typeIdLj2EES7_SJ_SE_EEvSA_SG_RKT3_T4_EUlidE_EEvlNS_15PhiloxCudaStateESF_SG_.kd
    .uniform_work_group_size: 1
    .uses_dynamic_stack: false
    .vgpr_count:     42
    .vgpr_spill_count: 0
    .wavefront_size: 32
    .workgroup_processor_mode: 1
  - .args:
      - .offset:         0
        .size:           8
        .value_kind:     by_value
      - .offset:         8
        .size:           32
        .value_kind:     by_value
      - .offset:         40
        .size:           1
        .value_kind:     by_value
      - .offset:         48
        .size:           296
        .value_kind:     by_value
      - .offset:         344
        .size:           4
        .value_kind:     hidden_block_count_x
      - .offset:         348
        .size:           4
        .value_kind:     hidden_block_count_y
      - .offset:         352
        .size:           4
        .value_kind:     hidden_block_count_z
      - .offset:         356
        .size:           2
        .value_kind:     hidden_group_size_x
      - .offset:         358
        .size:           2
        .value_kind:     hidden_group_size_y
      - .offset:         360
        .size:           2
        .value_kind:     hidden_group_size_z
      - .offset:         362
        .size:           2
        .value_kind:     hidden_remainder_x
      - .offset:         364
        .size:           2
        .value_kind:     hidden_remainder_y
      - .offset:         366
        .size:           2
        .value_kind:     hidden_remainder_z
      - .offset:         384
        .size:           8
        .value_kind:     hidden_global_offset_x
      - .offset:         392
        .size:           8
        .value_kind:     hidden_global_offset_y
      - .offset:         400
        .size:           8
        .value_kind:     hidden_global_offset_z
      - .offset:         408
        .size:           2
        .value_kind:     hidden_grid_dims
    .group_segment_fixed_size: 0
    .kernarg_segment_align: 8
    .kernarg_segment_size: 600
    .language:       OpenCL C
    .language_version:
      - 2
      - 0
    .max_flat_workgroup_size: 256
    .name:           _ZN2at6native12_GLOBAL__N_143distribution_elementwise_grid_stride_kernelIdLi2EZNS0_9templates4cuda21uniform_and_transformIddPNS_17CUDAGeneratorImplEZZZNS4_14uniform_kernelIS7_EEvRNS_18TensorIteratorBaseEddT_ENKUlvE_clEvENKUlvE_clEvEUldE_EEvSA_T1_T2_EUlP25hiprandStatePhilox4_32_10E_ZNS1_27distribution_nullary_kernelIdd15HIP_vector_typeIdLj2EES7_SJ_SE_EEvSA_SG_RKT3_T4_EUlidE0_EEvlNS_15PhiloxCudaStateESF_SG_
    .private_segment_fixed_size: 0
    .sgpr_count:     62
    .sgpr_spill_count: 0
    .symbol:         _ZN2at6native12_GLOBAL__N_143distribution_elementwise_grid_stride_kernelIdLi2EZNS0_9templates4cuda21uniform_and_transformIddPNS_17CUDAGeneratorImplEZZZNS4_14uniform_kernelIS7_EEvRNS_18TensorIteratorBaseEddT_ENKUlvE_clEvENKUlvE_clEvEUldE_EEvSA_T1_T2_EUlP25hiprandStatePhilox4_32_10E_ZNS1_27distribution_nullary_kernelIdd15HIP_vector_typeIdLj2EES7_SJ_SE_EEvSA_SG_RKT3_T4_EUlidE0_EEvlNS_15PhiloxCudaStateESF_SG_.kd
    .uniform_work_group_size: 1
    .uses_dynamic_stack: false
    .vgpr_count:     44
    .vgpr_spill_count: 0
    .wavefront_size: 32
    .workgroup_processor_mode: 1
  - .args:
      - .offset:         0
        .size:           8
        .value_kind:     by_value
      - .offset:         8
        .size:           32
        .value_kind:     by_value
      - .offset:         40
        .size:           1
        .value_kind:     by_value
      - .offset:         48
        .size:           40
        .value_kind:     by_value
      - .offset:         88
        .size:           4
        .value_kind:     hidden_block_count_x
      - .offset:         92
        .size:           4
        .value_kind:     hidden_block_count_y
      - .offset:         96
        .size:           4
        .value_kind:     hidden_block_count_z
      - .offset:         100
        .size:           2
        .value_kind:     hidden_group_size_x
      - .offset:         102
        .size:           2
        .value_kind:     hidden_group_size_y
      - .offset:         104
        .size:           2
        .value_kind:     hidden_group_size_z
      - .offset:         106
        .size:           2
        .value_kind:     hidden_remainder_x
      - .offset:         108
        .size:           2
        .value_kind:     hidden_remainder_y
      - .offset:         110
        .size:           2
        .value_kind:     hidden_remainder_z
      - .offset:         128
        .size:           8
        .value_kind:     hidden_global_offset_x
      - .offset:         136
        .size:           8
        .value_kind:     hidden_global_offset_y
      - .offset:         144
        .size:           8
        .value_kind:     hidden_global_offset_z
      - .offset:         152
        .size:           2
        .value_kind:     hidden_grid_dims
    .group_segment_fixed_size: 0
    .kernarg_segment_align: 8
    .kernarg_segment_size: 344
    .language:       OpenCL C
    .language_version:
      - 2
      - 0
    .max_flat_workgroup_size: 256
    .name:           _ZN2at6native12_GLOBAL__N_143distribution_elementwise_grid_stride_kernelIdLi2EZNS0_9templates4cuda21uniform_and_transformIddPNS_17CUDAGeneratorImplEZZZNS4_14uniform_kernelIS7_EEvRNS_18TensorIteratorBaseEddT_ENKUlvE_clEvENKUlvE_clEvEUldE_EEvSA_T1_T2_EUlP25hiprandStatePhilox4_32_10E0_ZNS1_27distribution_nullary_kernelIdd15HIP_vector_typeIfLj4EES7_SJ_SE_EEvSA_SG_RKT3_T4_EUlidE_EEvlNS_15PhiloxCudaStateESF_SG_
    .private_segment_fixed_size: 0
    .sgpr_count:     25
    .sgpr_spill_count: 0
    .symbol:         _ZN2at6native12_GLOBAL__N_143distribution_elementwise_grid_stride_kernelIdLi2EZNS0_9templates4cuda21uniform_and_transformIddPNS_17CUDAGeneratorImplEZZZNS4_14uniform_kernelIS7_EEvRNS_18TensorIteratorBaseEddT_ENKUlvE_clEvENKUlvE_clEvEUldE_EEvSA_T1_T2_EUlP25hiprandStatePhilox4_32_10E0_ZNS1_27distribution_nullary_kernelIdd15HIP_vector_typeIfLj4EES7_SJ_SE_EEvSA_SG_RKT3_T4_EUlidE_EEvlNS_15PhiloxCudaStateESF_SG_.kd
    .uniform_work_group_size: 1
    .uses_dynamic_stack: false
    .vgpr_count:     42
    .vgpr_spill_count: 0
    .wavefront_size: 32
    .workgroup_processor_mode: 1
  - .args:
      - .offset:         0
        .size:           8
        .value_kind:     by_value
      - .offset:         8
        .size:           32
        .value_kind:     by_value
      - .offset:         40
        .size:           1
        .value_kind:     by_value
      - .offset:         48
        .size:           296
        .value_kind:     by_value
      - .offset:         344
        .size:           4
        .value_kind:     hidden_block_count_x
      - .offset:         348
        .size:           4
        .value_kind:     hidden_block_count_y
      - .offset:         352
        .size:           4
        .value_kind:     hidden_block_count_z
      - .offset:         356
        .size:           2
        .value_kind:     hidden_group_size_x
      - .offset:         358
        .size:           2
        .value_kind:     hidden_group_size_y
      - .offset:         360
        .size:           2
        .value_kind:     hidden_group_size_z
      - .offset:         362
        .size:           2
        .value_kind:     hidden_remainder_x
      - .offset:         364
        .size:           2
        .value_kind:     hidden_remainder_y
      - .offset:         366
        .size:           2
        .value_kind:     hidden_remainder_z
      - .offset:         384
        .size:           8
        .value_kind:     hidden_global_offset_x
      - .offset:         392
        .size:           8
        .value_kind:     hidden_global_offset_y
      - .offset:         400
        .size:           8
        .value_kind:     hidden_global_offset_z
      - .offset:         408
        .size:           2
        .value_kind:     hidden_grid_dims
    .group_segment_fixed_size: 0
    .kernarg_segment_align: 8
    .kernarg_segment_size: 600
    .language:       OpenCL C
    .language_version:
      - 2
      - 0
    .max_flat_workgroup_size: 256
    .name:           _ZN2at6native12_GLOBAL__N_143distribution_elementwise_grid_stride_kernelIdLi2EZNS0_9templates4cuda21uniform_and_transformIddPNS_17CUDAGeneratorImplEZZZNS4_14uniform_kernelIS7_EEvRNS_18TensorIteratorBaseEddT_ENKUlvE_clEvENKUlvE_clEvEUldE_EEvSA_T1_T2_EUlP25hiprandStatePhilox4_32_10E0_ZNS1_27distribution_nullary_kernelIdd15HIP_vector_typeIfLj4EES7_SJ_SE_EEvSA_SG_RKT3_T4_EUlidE0_EEvlNS_15PhiloxCudaStateESF_SG_
    .private_segment_fixed_size: 0
    .sgpr_count:     62
    .sgpr_spill_count: 0
    .symbol:         _ZN2at6native12_GLOBAL__N_143distribution_elementwise_grid_stride_kernelIdLi2EZNS0_9templates4cuda21uniform_and_transformIddPNS_17CUDAGeneratorImplEZZZNS4_14uniform_kernelIS7_EEvRNS_18TensorIteratorBaseEddT_ENKUlvE_clEvENKUlvE_clEvEUldE_EEvSA_T1_T2_EUlP25hiprandStatePhilox4_32_10E0_ZNS1_27distribution_nullary_kernelIdd15HIP_vector_typeIfLj4EES7_SJ_SE_EEvSA_SG_RKT3_T4_EUlidE0_EEvlNS_15PhiloxCudaStateESF_SG_.kd
    .uniform_work_group_size: 1
    .uses_dynamic_stack: false
    .vgpr_count:     42
    .vgpr_spill_count: 0
    .wavefront_size: 32
    .workgroup_processor_mode: 1
  - .args:
      - .offset:         0
        .size:           8
        .value_kind:     by_value
      - .offset:         8
        .size:           32
        .value_kind:     by_value
      - .offset:         40
        .size:           1
        .value_kind:     by_value
      - .offset:         48
        .size:           24
        .value_kind:     by_value
      - .offset:         72
        .size:           4
        .value_kind:     hidden_block_count_x
      - .offset:         76
        .size:           4
        .value_kind:     hidden_block_count_y
      - .offset:         80
        .size:           4
        .value_kind:     hidden_block_count_z
      - .offset:         84
        .size:           2
        .value_kind:     hidden_group_size_x
      - .offset:         86
        .size:           2
        .value_kind:     hidden_group_size_y
      - .offset:         88
        .size:           2
        .value_kind:     hidden_group_size_z
      - .offset:         90
        .size:           2
        .value_kind:     hidden_remainder_x
      - .offset:         92
        .size:           2
        .value_kind:     hidden_remainder_y
      - .offset:         94
        .size:           2
        .value_kind:     hidden_remainder_z
      - .offset:         112
        .size:           8
        .value_kind:     hidden_global_offset_x
      - .offset:         120
        .size:           8
        .value_kind:     hidden_global_offset_y
      - .offset:         128
        .size:           8
        .value_kind:     hidden_global_offset_z
      - .offset:         136
        .size:           2
        .value_kind:     hidden_grid_dims
    .group_segment_fixed_size: 0
    .kernarg_segment_align: 8
    .kernarg_segment_size: 328
    .language:       OpenCL C
    .language_version:
      - 2
      - 0
    .max_flat_workgroup_size: 256
    .name:           _ZN2at6native12_GLOBAL__N_143distribution_elementwise_grid_stride_kernelIfLi4EZNS0_9templates4cuda21uniform_and_transformIffPNS_17CUDAGeneratorImplEZZZNS4_14uniform_kernelIS7_EEvRNS_18TensorIteratorBaseEddT_ENKUlvE_clEvENKUlvE0_clEvEUlfE_EEvSA_T1_T2_EUlP25hiprandStatePhilox4_32_10E_ZNS1_27distribution_nullary_kernelIff15HIP_vector_typeIdLj2EES7_SJ_SE_EEvSA_SG_RKT3_T4_EUlifE_EEvlNS_15PhiloxCudaStateESF_SG_
    .private_segment_fixed_size: 0
    .sgpr_count:     25
    .sgpr_spill_count: 0
    .symbol:         _ZN2at6native12_GLOBAL__N_143distribution_elementwise_grid_stride_kernelIfLi4EZNS0_9templates4cuda21uniform_and_transformIffPNS_17CUDAGeneratorImplEZZZNS4_14uniform_kernelIS7_EEvRNS_18TensorIteratorBaseEddT_ENKUlvE_clEvENKUlvE0_clEvEUlfE_EEvSA_T1_T2_EUlP25hiprandStatePhilox4_32_10E_ZNS1_27distribution_nullary_kernelIff15HIP_vector_typeIdLj2EES7_SJ_SE_EEvSA_SG_RKT3_T4_EUlifE_EEvlNS_15PhiloxCudaStateESF_SG_.kd
    .uniform_work_group_size: 1
    .uses_dynamic_stack: false
    .vgpr_count:     42
    .vgpr_spill_count: 0
    .wavefront_size: 32
    .workgroup_processor_mode: 1
  - .args:
      - .offset:         0
        .size:           8
        .value_kind:     by_value
      - .offset:         8
        .size:           32
        .value_kind:     by_value
      - .offset:         40
        .size:           1
        .value_kind:     by_value
      - .offset:         48
        .size:           288
        .value_kind:     by_value
      - .offset:         336
        .size:           4
        .value_kind:     hidden_block_count_x
      - .offset:         340
        .size:           4
        .value_kind:     hidden_block_count_y
      - .offset:         344
        .size:           4
        .value_kind:     hidden_block_count_z
      - .offset:         348
        .size:           2
        .value_kind:     hidden_group_size_x
      - .offset:         350
        .size:           2
        .value_kind:     hidden_group_size_y
      - .offset:         352
        .size:           2
        .value_kind:     hidden_group_size_z
      - .offset:         354
        .size:           2
        .value_kind:     hidden_remainder_x
      - .offset:         356
        .size:           2
        .value_kind:     hidden_remainder_y
      - .offset:         358
        .size:           2
        .value_kind:     hidden_remainder_z
      - .offset:         376
        .size:           8
        .value_kind:     hidden_global_offset_x
      - .offset:         384
        .size:           8
        .value_kind:     hidden_global_offset_y
      - .offset:         392
        .size:           8
        .value_kind:     hidden_global_offset_z
      - .offset:         400
        .size:           2
        .value_kind:     hidden_grid_dims
    .group_segment_fixed_size: 0
    .kernarg_segment_align: 8
    .kernarg_segment_size: 592
    .language:       OpenCL C
    .language_version:
      - 2
      - 0
    .max_flat_workgroup_size: 256
    .name:           _ZN2at6native12_GLOBAL__N_143distribution_elementwise_grid_stride_kernelIfLi4EZNS0_9templates4cuda21uniform_and_transformIffPNS_17CUDAGeneratorImplEZZZNS4_14uniform_kernelIS7_EEvRNS_18TensorIteratorBaseEddT_ENKUlvE_clEvENKUlvE0_clEvEUlfE_EEvSA_T1_T2_EUlP25hiprandStatePhilox4_32_10E_ZNS1_27distribution_nullary_kernelIff15HIP_vector_typeIdLj2EES7_SJ_SE_EEvSA_SG_RKT3_T4_EUlifE0_EEvlNS_15PhiloxCudaStateESF_SG_
    .private_segment_fixed_size: 0
    .sgpr_count:     58
    .sgpr_spill_count: 0
    .symbol:         _ZN2at6native12_GLOBAL__N_143distribution_elementwise_grid_stride_kernelIfLi4EZNS0_9templates4cuda21uniform_and_transformIffPNS_17CUDAGeneratorImplEZZZNS4_14uniform_kernelIS7_EEvRNS_18TensorIteratorBaseEddT_ENKUlvE_clEvENKUlvE0_clEvEUlfE_EEvSA_T1_T2_EUlP25hiprandStatePhilox4_32_10E_ZNS1_27distribution_nullary_kernelIff15HIP_vector_typeIdLj2EES7_SJ_SE_EEvSA_SG_RKT3_T4_EUlifE0_EEvlNS_15PhiloxCudaStateESF_SG_.kd
    .uniform_work_group_size: 1
    .uses_dynamic_stack: false
    .vgpr_count:     44
    .vgpr_spill_count: 0
    .wavefront_size: 32
    .workgroup_processor_mode: 1
  - .args:
      - .offset:         0
        .size:           8
        .value_kind:     by_value
      - .offset:         8
        .size:           32
        .value_kind:     by_value
      - .offset:         40
        .size:           1
        .value_kind:     by_value
      - .offset:         48
        .size:           24
        .value_kind:     by_value
      - .offset:         72
        .size:           4
        .value_kind:     hidden_block_count_x
      - .offset:         76
        .size:           4
        .value_kind:     hidden_block_count_y
      - .offset:         80
        .size:           4
        .value_kind:     hidden_block_count_z
      - .offset:         84
        .size:           2
        .value_kind:     hidden_group_size_x
      - .offset:         86
        .size:           2
        .value_kind:     hidden_group_size_y
      - .offset:         88
        .size:           2
        .value_kind:     hidden_group_size_z
      - .offset:         90
        .size:           2
        .value_kind:     hidden_remainder_x
      - .offset:         92
        .size:           2
        .value_kind:     hidden_remainder_y
      - .offset:         94
        .size:           2
        .value_kind:     hidden_remainder_z
      - .offset:         112
        .size:           8
        .value_kind:     hidden_global_offset_x
      - .offset:         120
        .size:           8
        .value_kind:     hidden_global_offset_y
      - .offset:         128
        .size:           8
        .value_kind:     hidden_global_offset_z
      - .offset:         136
        .size:           2
        .value_kind:     hidden_grid_dims
    .group_segment_fixed_size: 0
    .kernarg_segment_align: 8
    .kernarg_segment_size: 328
    .language:       OpenCL C
    .language_version:
      - 2
      - 0
    .max_flat_workgroup_size: 256
    .name:           _ZN2at6native12_GLOBAL__N_143distribution_elementwise_grid_stride_kernelIfLi4EZNS0_9templates4cuda21uniform_and_transformIffPNS_17CUDAGeneratorImplEZZZNS4_14uniform_kernelIS7_EEvRNS_18TensorIteratorBaseEddT_ENKUlvE_clEvENKUlvE0_clEvEUlfE_EEvSA_T1_T2_EUlP25hiprandStatePhilox4_32_10E0_ZNS1_27distribution_nullary_kernelIff15HIP_vector_typeIfLj4EES7_SJ_SE_EEvSA_SG_RKT3_T4_EUlifE_EEvlNS_15PhiloxCudaStateESF_SG_
    .private_segment_fixed_size: 0
    .sgpr_count:     25
    .sgpr_spill_count: 0
    .symbol:         _ZN2at6native12_GLOBAL__N_143distribution_elementwise_grid_stride_kernelIfLi4EZNS0_9templates4cuda21uniform_and_transformIffPNS_17CUDAGeneratorImplEZZZNS4_14uniform_kernelIS7_EEvRNS_18TensorIteratorBaseEddT_ENKUlvE_clEvENKUlvE0_clEvEUlfE_EEvSA_T1_T2_EUlP25hiprandStatePhilox4_32_10E0_ZNS1_27distribution_nullary_kernelIff15HIP_vector_typeIfLj4EES7_SJ_SE_EEvSA_SG_RKT3_T4_EUlifE_EEvlNS_15PhiloxCudaStateESF_SG_.kd
    .uniform_work_group_size: 1
    .uses_dynamic_stack: false
    .vgpr_count:     44
    .vgpr_spill_count: 0
    .wavefront_size: 32
    .workgroup_processor_mode: 1
  - .args:
      - .offset:         0
        .size:           8
        .value_kind:     by_value
      - .offset:         8
        .size:           32
        .value_kind:     by_value
      - .offset:         40
        .size:           1
        .value_kind:     by_value
      - .offset:         48
        .size:           288
        .value_kind:     by_value
      - .offset:         336
        .size:           4
        .value_kind:     hidden_block_count_x
      - .offset:         340
        .size:           4
        .value_kind:     hidden_block_count_y
      - .offset:         344
        .size:           4
        .value_kind:     hidden_block_count_z
      - .offset:         348
        .size:           2
        .value_kind:     hidden_group_size_x
      - .offset:         350
        .size:           2
        .value_kind:     hidden_group_size_y
      - .offset:         352
        .size:           2
        .value_kind:     hidden_group_size_z
      - .offset:         354
        .size:           2
        .value_kind:     hidden_remainder_x
      - .offset:         356
        .size:           2
        .value_kind:     hidden_remainder_y
      - .offset:         358
        .size:           2
        .value_kind:     hidden_remainder_z
      - .offset:         376
        .size:           8
        .value_kind:     hidden_global_offset_x
      - .offset:         384
        .size:           8
        .value_kind:     hidden_global_offset_y
      - .offset:         392
        .size:           8
        .value_kind:     hidden_global_offset_z
      - .offset:         400
        .size:           2
        .value_kind:     hidden_grid_dims
    .group_segment_fixed_size: 0
    .kernarg_segment_align: 8
    .kernarg_segment_size: 592
    .language:       OpenCL C
    .language_version:
      - 2
      - 0
    .max_flat_workgroup_size: 256
    .name:           _ZN2at6native12_GLOBAL__N_143distribution_elementwise_grid_stride_kernelIfLi4EZNS0_9templates4cuda21uniform_and_transformIffPNS_17CUDAGeneratorImplEZZZNS4_14uniform_kernelIS7_EEvRNS_18TensorIteratorBaseEddT_ENKUlvE_clEvENKUlvE0_clEvEUlfE_EEvSA_T1_T2_EUlP25hiprandStatePhilox4_32_10E0_ZNS1_27distribution_nullary_kernelIff15HIP_vector_typeIfLj4EES7_SJ_SE_EEvSA_SG_RKT3_T4_EUlifE0_EEvlNS_15PhiloxCudaStateESF_SG_
    .private_segment_fixed_size: 0
    .sgpr_count:     58
    .sgpr_spill_count: 0
    .symbol:         _ZN2at6native12_GLOBAL__N_143distribution_elementwise_grid_stride_kernelIfLi4EZNS0_9templates4cuda21uniform_and_transformIffPNS_17CUDAGeneratorImplEZZZNS4_14uniform_kernelIS7_EEvRNS_18TensorIteratorBaseEddT_ENKUlvE_clEvENKUlvE0_clEvEUlfE_EEvSA_T1_T2_EUlP25hiprandStatePhilox4_32_10E0_ZNS1_27distribution_nullary_kernelIff15HIP_vector_typeIfLj4EES7_SJ_SE_EEvSA_SG_RKT3_T4_EUlifE0_EEvlNS_15PhiloxCudaStateESF_SG_.kd
    .uniform_work_group_size: 1
    .uses_dynamic_stack: false
    .vgpr_count:     44
    .vgpr_spill_count: 0
    .wavefront_size: 32
    .workgroup_processor_mode: 1
  - .args:
      - .offset:         0
        .size:           8
        .value_kind:     by_value
      - .offset:         8
        .size:           32
        .value_kind:     by_value
      - .offset:         40
        .size:           1
        .value_kind:     by_value
      - .offset:         48
        .size:           24
        .value_kind:     by_value
      - .offset:         72
        .size:           4
        .value_kind:     hidden_block_count_x
      - .offset:         76
        .size:           4
        .value_kind:     hidden_block_count_y
      - .offset:         80
        .size:           4
        .value_kind:     hidden_block_count_z
      - .offset:         84
        .size:           2
        .value_kind:     hidden_group_size_x
      - .offset:         86
        .size:           2
        .value_kind:     hidden_group_size_y
      - .offset:         88
        .size:           2
        .value_kind:     hidden_group_size_z
      - .offset:         90
        .size:           2
        .value_kind:     hidden_remainder_x
      - .offset:         92
        .size:           2
        .value_kind:     hidden_remainder_y
      - .offset:         94
        .size:           2
        .value_kind:     hidden_remainder_z
      - .offset:         112
        .size:           8
        .value_kind:     hidden_global_offset_x
      - .offset:         120
        .size:           8
        .value_kind:     hidden_global_offset_y
      - .offset:         128
        .size:           8
        .value_kind:     hidden_global_offset_z
      - .offset:         136
        .size:           2
        .value_kind:     hidden_grid_dims
    .group_segment_fixed_size: 0
    .kernarg_segment_align: 8
    .kernarg_segment_size: 328
    .language:       OpenCL C
    .language_version:
      - 2
      - 0
    .max_flat_workgroup_size: 256
    .name:           _ZN2at6native12_GLOBAL__N_143distribution_elementwise_grid_stride_kernelIfLi4EZNS0_9templates4cuda21uniform_and_transformIN3c104HalfEfPNS_17CUDAGeneratorImplEZZZNS4_14uniform_kernelIS9_EEvRNS_18TensorIteratorBaseEddT_ENKUlvE_clEvENKUlvE1_clEvEUlfE_EEvSC_T1_T2_EUlP25hiprandStatePhilox4_32_10E_ZNS1_27distribution_nullary_kernelIS7_f15HIP_vector_typeIdLj2EES9_SL_SG_EEvSC_SI_RKT3_T4_EUlifE_EEvlNS_15PhiloxCudaStateESH_SI_
    .private_segment_fixed_size: 0
    .sgpr_count:     25
    .sgpr_spill_count: 0
    .symbol:         _ZN2at6native12_GLOBAL__N_143distribution_elementwise_grid_stride_kernelIfLi4EZNS0_9templates4cuda21uniform_and_transformIN3c104HalfEfPNS_17CUDAGeneratorImplEZZZNS4_14uniform_kernelIS9_EEvRNS_18TensorIteratorBaseEddT_ENKUlvE_clEvENKUlvE1_clEvEUlfE_EEvSC_T1_T2_EUlP25hiprandStatePhilox4_32_10E_ZNS1_27distribution_nullary_kernelIS7_f15HIP_vector_typeIdLj2EES9_SL_SG_EEvSC_SI_RKT3_T4_EUlifE_EEvlNS_15PhiloxCudaStateESH_SI_.kd
    .uniform_work_group_size: 1
    .uses_dynamic_stack: false
    .vgpr_count:     43
    .vgpr_spill_count: 0
    .wavefront_size: 32
    .workgroup_processor_mode: 1
  - .args:
      - .offset:         0
        .size:           8
        .value_kind:     by_value
      - .offset:         8
        .size:           32
        .value_kind:     by_value
      - .offset:         40
        .size:           1
        .value_kind:     by_value
      - .offset:         48
        .size:           280
        .value_kind:     by_value
      - .offset:         328
        .size:           4
        .value_kind:     hidden_block_count_x
      - .offset:         332
        .size:           4
        .value_kind:     hidden_block_count_y
      - .offset:         336
        .size:           4
        .value_kind:     hidden_block_count_z
      - .offset:         340
        .size:           2
        .value_kind:     hidden_group_size_x
      - .offset:         342
        .size:           2
        .value_kind:     hidden_group_size_y
      - .offset:         344
        .size:           2
        .value_kind:     hidden_group_size_z
      - .offset:         346
        .size:           2
        .value_kind:     hidden_remainder_x
      - .offset:         348
        .size:           2
        .value_kind:     hidden_remainder_y
      - .offset:         350
        .size:           2
        .value_kind:     hidden_remainder_z
      - .offset:         368
        .size:           8
        .value_kind:     hidden_global_offset_x
      - .offset:         376
        .size:           8
        .value_kind:     hidden_global_offset_y
      - .offset:         384
        .size:           8
        .value_kind:     hidden_global_offset_z
      - .offset:         392
        .size:           2
        .value_kind:     hidden_grid_dims
    .group_segment_fixed_size: 0
    .kernarg_segment_align: 8
    .kernarg_segment_size: 584
    .language:       OpenCL C
    .language_version:
      - 2
      - 0
    .max_flat_workgroup_size: 256
    .name:           _ZN2at6native12_GLOBAL__N_143distribution_elementwise_grid_stride_kernelIfLi4EZNS0_9templates4cuda21uniform_and_transformIN3c104HalfEfPNS_17CUDAGeneratorImplEZZZNS4_14uniform_kernelIS9_EEvRNS_18TensorIteratorBaseEddT_ENKUlvE_clEvENKUlvE1_clEvEUlfE_EEvSC_T1_T2_EUlP25hiprandStatePhilox4_32_10E_ZNS1_27distribution_nullary_kernelIS7_f15HIP_vector_typeIdLj2EES9_SL_SG_EEvSC_SI_RKT3_T4_EUlifE0_EEvlNS_15PhiloxCudaStateESH_SI_
    .private_segment_fixed_size: 0
    .sgpr_count:     58
    .sgpr_spill_count: 0
    .symbol:         _ZN2at6native12_GLOBAL__N_143distribution_elementwise_grid_stride_kernelIfLi4EZNS0_9templates4cuda21uniform_and_transformIN3c104HalfEfPNS_17CUDAGeneratorImplEZZZNS4_14uniform_kernelIS9_EEvRNS_18TensorIteratorBaseEddT_ENKUlvE_clEvENKUlvE1_clEvEUlfE_EEvSC_T1_T2_EUlP25hiprandStatePhilox4_32_10E_ZNS1_27distribution_nullary_kernelIS7_f15HIP_vector_typeIdLj2EES9_SL_SG_EEvSC_SI_RKT3_T4_EUlifE0_EEvlNS_15PhiloxCudaStateESH_SI_.kd
    .uniform_work_group_size: 1
    .uses_dynamic_stack: false
    .vgpr_count:     45
    .vgpr_spill_count: 0
    .wavefront_size: 32
    .workgroup_processor_mode: 1
  - .args:
      - .offset:         0
        .size:           8
        .value_kind:     by_value
      - .offset:         8
        .size:           32
        .value_kind:     by_value
      - .offset:         40
        .size:           1
        .value_kind:     by_value
      - .offset:         48
        .size:           24
        .value_kind:     by_value
      - .offset:         72
        .size:           4
        .value_kind:     hidden_block_count_x
      - .offset:         76
        .size:           4
        .value_kind:     hidden_block_count_y
      - .offset:         80
        .size:           4
        .value_kind:     hidden_block_count_z
      - .offset:         84
        .size:           2
        .value_kind:     hidden_group_size_x
      - .offset:         86
        .size:           2
        .value_kind:     hidden_group_size_y
      - .offset:         88
        .size:           2
        .value_kind:     hidden_group_size_z
      - .offset:         90
        .size:           2
        .value_kind:     hidden_remainder_x
      - .offset:         92
        .size:           2
        .value_kind:     hidden_remainder_y
      - .offset:         94
        .size:           2
        .value_kind:     hidden_remainder_z
      - .offset:         112
        .size:           8
        .value_kind:     hidden_global_offset_x
      - .offset:         120
        .size:           8
        .value_kind:     hidden_global_offset_y
      - .offset:         128
        .size:           8
        .value_kind:     hidden_global_offset_z
      - .offset:         136
        .size:           2
        .value_kind:     hidden_grid_dims
    .group_segment_fixed_size: 0
    .kernarg_segment_align: 8
    .kernarg_segment_size: 328
    .language:       OpenCL C
    .language_version:
      - 2
      - 0
    .max_flat_workgroup_size: 256
    .name:           _ZN2at6native12_GLOBAL__N_143distribution_elementwise_grid_stride_kernelIfLi4EZNS0_9templates4cuda21uniform_and_transformIN3c104HalfEfPNS_17CUDAGeneratorImplEZZZNS4_14uniform_kernelIS9_EEvRNS_18TensorIteratorBaseEddT_ENKUlvE_clEvENKUlvE1_clEvEUlfE_EEvSC_T1_T2_EUlP25hiprandStatePhilox4_32_10E0_ZNS1_27distribution_nullary_kernelIS7_f15HIP_vector_typeIfLj4EES9_SL_SG_EEvSC_SI_RKT3_T4_EUlifE_EEvlNS_15PhiloxCudaStateESH_SI_
    .private_segment_fixed_size: 0
    .sgpr_count:     25
    .sgpr_spill_count: 0
    .symbol:         _ZN2at6native12_GLOBAL__N_143distribution_elementwise_grid_stride_kernelIfLi4EZNS0_9templates4cuda21uniform_and_transformIN3c104HalfEfPNS_17CUDAGeneratorImplEZZZNS4_14uniform_kernelIS9_EEvRNS_18TensorIteratorBaseEddT_ENKUlvE_clEvENKUlvE1_clEvEUlfE_EEvSC_T1_T2_EUlP25hiprandStatePhilox4_32_10E0_ZNS1_27distribution_nullary_kernelIS7_f15HIP_vector_typeIfLj4EES9_SL_SG_EEvSC_SI_RKT3_T4_EUlifE_EEvlNS_15PhiloxCudaStateESH_SI_.kd
    .uniform_work_group_size: 1
    .uses_dynamic_stack: false
    .vgpr_count:     46
    .vgpr_spill_count: 0
    .wavefront_size: 32
    .workgroup_processor_mode: 1
  - .args:
      - .offset:         0
        .size:           8
        .value_kind:     by_value
      - .offset:         8
        .size:           32
        .value_kind:     by_value
      - .offset:         40
        .size:           1
        .value_kind:     by_value
      - .offset:         48
        .size:           280
        .value_kind:     by_value
      - .offset:         328
        .size:           4
        .value_kind:     hidden_block_count_x
      - .offset:         332
        .size:           4
        .value_kind:     hidden_block_count_y
      - .offset:         336
        .size:           4
        .value_kind:     hidden_block_count_z
      - .offset:         340
        .size:           2
        .value_kind:     hidden_group_size_x
      - .offset:         342
        .size:           2
        .value_kind:     hidden_group_size_y
      - .offset:         344
        .size:           2
        .value_kind:     hidden_group_size_z
      - .offset:         346
        .size:           2
        .value_kind:     hidden_remainder_x
      - .offset:         348
        .size:           2
        .value_kind:     hidden_remainder_y
      - .offset:         350
        .size:           2
        .value_kind:     hidden_remainder_z
      - .offset:         368
        .size:           8
        .value_kind:     hidden_global_offset_x
      - .offset:         376
        .size:           8
        .value_kind:     hidden_global_offset_y
      - .offset:         384
        .size:           8
        .value_kind:     hidden_global_offset_z
      - .offset:         392
        .size:           2
        .value_kind:     hidden_grid_dims
    .group_segment_fixed_size: 0
    .kernarg_segment_align: 8
    .kernarg_segment_size: 584
    .language:       OpenCL C
    .language_version:
      - 2
      - 0
    .max_flat_workgroup_size: 256
    .name:           _ZN2at6native12_GLOBAL__N_143distribution_elementwise_grid_stride_kernelIfLi4EZNS0_9templates4cuda21uniform_and_transformIN3c104HalfEfPNS_17CUDAGeneratorImplEZZZNS4_14uniform_kernelIS9_EEvRNS_18TensorIteratorBaseEddT_ENKUlvE_clEvENKUlvE1_clEvEUlfE_EEvSC_T1_T2_EUlP25hiprandStatePhilox4_32_10E0_ZNS1_27distribution_nullary_kernelIS7_f15HIP_vector_typeIfLj4EES9_SL_SG_EEvSC_SI_RKT3_T4_EUlifE0_EEvlNS_15PhiloxCudaStateESH_SI_
    .private_segment_fixed_size: 0
    .sgpr_count:     58
    .sgpr_spill_count: 0
    .symbol:         _ZN2at6native12_GLOBAL__N_143distribution_elementwise_grid_stride_kernelIfLi4EZNS0_9templates4cuda21uniform_and_transformIN3c104HalfEfPNS_17CUDAGeneratorImplEZZZNS4_14uniform_kernelIS9_EEvRNS_18TensorIteratorBaseEddT_ENKUlvE_clEvENKUlvE1_clEvEUlfE_EEvSC_T1_T2_EUlP25hiprandStatePhilox4_32_10E0_ZNS1_27distribution_nullary_kernelIS7_f15HIP_vector_typeIfLj4EES9_SL_SG_EEvSC_SI_RKT3_T4_EUlifE0_EEvlNS_15PhiloxCudaStateESH_SI_.kd
    .uniform_work_group_size: 1
    .uses_dynamic_stack: false
    .vgpr_count:     45
    .vgpr_spill_count: 0
    .wavefront_size: 32
    .workgroup_processor_mode: 1
  - .args:
      - .offset:         0
        .size:           8
        .value_kind:     by_value
      - .offset:         8
        .size:           32
        .value_kind:     by_value
      - .offset:         40
        .size:           1
        .value_kind:     by_value
      - .offset:         48
        .size:           24
        .value_kind:     by_value
      - .offset:         72
        .size:           4
        .value_kind:     hidden_block_count_x
      - .offset:         76
        .size:           4
        .value_kind:     hidden_block_count_y
      - .offset:         80
        .size:           4
        .value_kind:     hidden_block_count_z
      - .offset:         84
        .size:           2
        .value_kind:     hidden_group_size_x
      - .offset:         86
        .size:           2
        .value_kind:     hidden_group_size_y
      - .offset:         88
        .size:           2
        .value_kind:     hidden_group_size_z
      - .offset:         90
        .size:           2
        .value_kind:     hidden_remainder_x
      - .offset:         92
        .size:           2
        .value_kind:     hidden_remainder_y
      - .offset:         94
        .size:           2
        .value_kind:     hidden_remainder_z
      - .offset:         112
        .size:           8
        .value_kind:     hidden_global_offset_x
      - .offset:         120
        .size:           8
        .value_kind:     hidden_global_offset_y
      - .offset:         128
        .size:           8
        .value_kind:     hidden_global_offset_z
      - .offset:         136
        .size:           2
        .value_kind:     hidden_grid_dims
    .group_segment_fixed_size: 0
    .kernarg_segment_align: 8
    .kernarg_segment_size: 328
    .language:       OpenCL C
    .language_version:
      - 2
      - 0
    .max_flat_workgroup_size: 256
    .name:           _ZN2at6native12_GLOBAL__N_143distribution_elementwise_grid_stride_kernelIfLi4EZNS0_9templates4cuda21uniform_and_transformIN3c108BFloat16EfPNS_17CUDAGeneratorImplEZZZNS4_14uniform_kernelIS9_EEvRNS_18TensorIteratorBaseEddT_ENKUlvE_clEvENKUlvE2_clEvEUlfE_EEvSC_T1_T2_EUlP25hiprandStatePhilox4_32_10E_ZNS1_27distribution_nullary_kernelIS7_f15HIP_vector_typeIdLj2EES9_SL_SG_EEvSC_SI_RKT3_T4_EUlifE_EEvlNS_15PhiloxCudaStateESH_SI_
    .private_segment_fixed_size: 0
    .sgpr_count:     25
    .sgpr_spill_count: 0
    .symbol:         _ZN2at6native12_GLOBAL__N_143distribution_elementwise_grid_stride_kernelIfLi4EZNS0_9templates4cuda21uniform_and_transformIN3c108BFloat16EfPNS_17CUDAGeneratorImplEZZZNS4_14uniform_kernelIS9_EEvRNS_18TensorIteratorBaseEddT_ENKUlvE_clEvENKUlvE2_clEvEUlfE_EEvSC_T1_T2_EUlP25hiprandStatePhilox4_32_10E_ZNS1_27distribution_nullary_kernelIS7_f15HIP_vector_typeIdLj2EES9_SL_SG_EEvSC_SI_RKT3_T4_EUlifE_EEvlNS_15PhiloxCudaStateESH_SI_.kd
    .uniform_work_group_size: 1
    .uses_dynamic_stack: false
    .vgpr_count:     42
    .vgpr_spill_count: 0
    .wavefront_size: 32
    .workgroup_processor_mode: 1
  - .args:
      - .offset:         0
        .size:           8
        .value_kind:     by_value
      - .offset:         8
        .size:           32
        .value_kind:     by_value
      - .offset:         40
        .size:           1
        .value_kind:     by_value
      - .offset:         48
        .size:           280
        .value_kind:     by_value
      - .offset:         328
        .size:           4
        .value_kind:     hidden_block_count_x
      - .offset:         332
        .size:           4
        .value_kind:     hidden_block_count_y
      - .offset:         336
        .size:           4
        .value_kind:     hidden_block_count_z
      - .offset:         340
        .size:           2
        .value_kind:     hidden_group_size_x
      - .offset:         342
        .size:           2
        .value_kind:     hidden_group_size_y
      - .offset:         344
        .size:           2
        .value_kind:     hidden_group_size_z
      - .offset:         346
        .size:           2
        .value_kind:     hidden_remainder_x
      - .offset:         348
        .size:           2
        .value_kind:     hidden_remainder_y
      - .offset:         350
        .size:           2
        .value_kind:     hidden_remainder_z
      - .offset:         368
        .size:           8
        .value_kind:     hidden_global_offset_x
      - .offset:         376
        .size:           8
        .value_kind:     hidden_global_offset_y
      - .offset:         384
        .size:           8
        .value_kind:     hidden_global_offset_z
      - .offset:         392
        .size:           2
        .value_kind:     hidden_grid_dims
    .group_segment_fixed_size: 0
    .kernarg_segment_align: 8
    .kernarg_segment_size: 584
    .language:       OpenCL C
    .language_version:
      - 2
      - 0
    .max_flat_workgroup_size: 256
    .name:           _ZN2at6native12_GLOBAL__N_143distribution_elementwise_grid_stride_kernelIfLi4EZNS0_9templates4cuda21uniform_and_transformIN3c108BFloat16EfPNS_17CUDAGeneratorImplEZZZNS4_14uniform_kernelIS9_EEvRNS_18TensorIteratorBaseEddT_ENKUlvE_clEvENKUlvE2_clEvEUlfE_EEvSC_T1_T2_EUlP25hiprandStatePhilox4_32_10E_ZNS1_27distribution_nullary_kernelIS7_f15HIP_vector_typeIdLj2EES9_SL_SG_EEvSC_SI_RKT3_T4_EUlifE0_EEvlNS_15PhiloxCudaStateESH_SI_
    .private_segment_fixed_size: 0
    .sgpr_count:     58
    .sgpr_spill_count: 0
    .symbol:         _ZN2at6native12_GLOBAL__N_143distribution_elementwise_grid_stride_kernelIfLi4EZNS0_9templates4cuda21uniform_and_transformIN3c108BFloat16EfPNS_17CUDAGeneratorImplEZZZNS4_14uniform_kernelIS9_EEvRNS_18TensorIteratorBaseEddT_ENKUlvE_clEvENKUlvE2_clEvEUlfE_EEvSC_T1_T2_EUlP25hiprandStatePhilox4_32_10E_ZNS1_27distribution_nullary_kernelIS7_f15HIP_vector_typeIdLj2EES9_SL_SG_EEvSC_SI_RKT3_T4_EUlifE0_EEvlNS_15PhiloxCudaStateESH_SI_.kd
    .uniform_work_group_size: 1
    .uses_dynamic_stack: false
    .vgpr_count:     44
    .vgpr_spill_count: 0
    .wavefront_size: 32
    .workgroup_processor_mode: 1
  - .args:
      - .offset:         0
        .size:           8
        .value_kind:     by_value
      - .offset:         8
        .size:           32
        .value_kind:     by_value
      - .offset:         40
        .size:           1
        .value_kind:     by_value
      - .offset:         48
        .size:           24
        .value_kind:     by_value
      - .offset:         72
        .size:           4
        .value_kind:     hidden_block_count_x
      - .offset:         76
        .size:           4
        .value_kind:     hidden_block_count_y
      - .offset:         80
        .size:           4
        .value_kind:     hidden_block_count_z
      - .offset:         84
        .size:           2
        .value_kind:     hidden_group_size_x
      - .offset:         86
        .size:           2
        .value_kind:     hidden_group_size_y
      - .offset:         88
        .size:           2
        .value_kind:     hidden_group_size_z
      - .offset:         90
        .size:           2
        .value_kind:     hidden_remainder_x
      - .offset:         92
        .size:           2
        .value_kind:     hidden_remainder_y
      - .offset:         94
        .size:           2
        .value_kind:     hidden_remainder_z
      - .offset:         112
        .size:           8
        .value_kind:     hidden_global_offset_x
      - .offset:         120
        .size:           8
        .value_kind:     hidden_global_offset_y
      - .offset:         128
        .size:           8
        .value_kind:     hidden_global_offset_z
      - .offset:         136
        .size:           2
        .value_kind:     hidden_grid_dims
    .group_segment_fixed_size: 0
    .kernarg_segment_align: 8
    .kernarg_segment_size: 328
    .language:       OpenCL C
    .language_version:
      - 2
      - 0
    .max_flat_workgroup_size: 256
    .name:           _ZN2at6native12_GLOBAL__N_143distribution_elementwise_grid_stride_kernelIfLi4EZNS0_9templates4cuda21uniform_and_transformIN3c108BFloat16EfPNS_17CUDAGeneratorImplEZZZNS4_14uniform_kernelIS9_EEvRNS_18TensorIteratorBaseEddT_ENKUlvE_clEvENKUlvE2_clEvEUlfE_EEvSC_T1_T2_EUlP25hiprandStatePhilox4_32_10E0_ZNS1_27distribution_nullary_kernelIS7_f15HIP_vector_typeIfLj4EES9_SL_SG_EEvSC_SI_RKT3_T4_EUlifE_EEvlNS_15PhiloxCudaStateESH_SI_
    .private_segment_fixed_size: 0
    .sgpr_count:     25
    .sgpr_spill_count: 0
    .symbol:         _ZN2at6native12_GLOBAL__N_143distribution_elementwise_grid_stride_kernelIfLi4EZNS0_9templates4cuda21uniform_and_transformIN3c108BFloat16EfPNS_17CUDAGeneratorImplEZZZNS4_14uniform_kernelIS9_EEvRNS_18TensorIteratorBaseEddT_ENKUlvE_clEvENKUlvE2_clEvEUlfE_EEvSC_T1_T2_EUlP25hiprandStatePhilox4_32_10E0_ZNS1_27distribution_nullary_kernelIS7_f15HIP_vector_typeIfLj4EES9_SL_SG_EEvSC_SI_RKT3_T4_EUlifE_EEvlNS_15PhiloxCudaStateESH_SI_.kd
    .uniform_work_group_size: 1
    .uses_dynamic_stack: false
    .vgpr_count:     45
    .vgpr_spill_count: 0
    .wavefront_size: 32
    .workgroup_processor_mode: 1
  - .args:
      - .offset:         0
        .size:           8
        .value_kind:     by_value
      - .offset:         8
        .size:           32
        .value_kind:     by_value
      - .offset:         40
        .size:           1
        .value_kind:     by_value
      - .offset:         48
        .size:           280
        .value_kind:     by_value
      - .offset:         328
        .size:           4
        .value_kind:     hidden_block_count_x
      - .offset:         332
        .size:           4
        .value_kind:     hidden_block_count_y
      - .offset:         336
        .size:           4
        .value_kind:     hidden_block_count_z
      - .offset:         340
        .size:           2
        .value_kind:     hidden_group_size_x
      - .offset:         342
        .size:           2
        .value_kind:     hidden_group_size_y
      - .offset:         344
        .size:           2
        .value_kind:     hidden_group_size_z
      - .offset:         346
        .size:           2
        .value_kind:     hidden_remainder_x
      - .offset:         348
        .size:           2
        .value_kind:     hidden_remainder_y
      - .offset:         350
        .size:           2
        .value_kind:     hidden_remainder_z
      - .offset:         368
        .size:           8
        .value_kind:     hidden_global_offset_x
      - .offset:         376
        .size:           8
        .value_kind:     hidden_global_offset_y
      - .offset:         384
        .size:           8
        .value_kind:     hidden_global_offset_z
      - .offset:         392
        .size:           2
        .value_kind:     hidden_grid_dims
    .group_segment_fixed_size: 0
    .kernarg_segment_align: 8
    .kernarg_segment_size: 584
    .language:       OpenCL C
    .language_version:
      - 2
      - 0
    .max_flat_workgroup_size: 256
    .name:           _ZN2at6native12_GLOBAL__N_143distribution_elementwise_grid_stride_kernelIfLi4EZNS0_9templates4cuda21uniform_and_transformIN3c108BFloat16EfPNS_17CUDAGeneratorImplEZZZNS4_14uniform_kernelIS9_EEvRNS_18TensorIteratorBaseEddT_ENKUlvE_clEvENKUlvE2_clEvEUlfE_EEvSC_T1_T2_EUlP25hiprandStatePhilox4_32_10E0_ZNS1_27distribution_nullary_kernelIS7_f15HIP_vector_typeIfLj4EES9_SL_SG_EEvSC_SI_RKT3_T4_EUlifE0_EEvlNS_15PhiloxCudaStateESH_SI_
    .private_segment_fixed_size: 0
    .sgpr_count:     62
    .sgpr_spill_count: 0
    .symbol:         _ZN2at6native12_GLOBAL__N_143distribution_elementwise_grid_stride_kernelIfLi4EZNS0_9templates4cuda21uniform_and_transformIN3c108BFloat16EfPNS_17CUDAGeneratorImplEZZZNS4_14uniform_kernelIS9_EEvRNS_18TensorIteratorBaseEddT_ENKUlvE_clEvENKUlvE2_clEvEUlfE_EEvSC_T1_T2_EUlP25hiprandStatePhilox4_32_10E0_ZNS1_27distribution_nullary_kernelIS7_f15HIP_vector_typeIfLj4EES9_SL_SG_EEvSC_SI_RKT3_T4_EUlifE0_EEvlNS_15PhiloxCudaStateESH_SI_.kd
    .uniform_work_group_size: 1
    .uses_dynamic_stack: false
    .vgpr_count:     44
    .vgpr_spill_count: 0
    .wavefront_size: 32
    .workgroup_processor_mode: 1
amdhsa.target:   amdgcn-amd-amdhsa--gfx1100
amdhsa.version:
  - 1
  - 2
...

	.end_amdgpu_metadata
